;; amdgpu-corpus repo=ROCm/rocFFT kind=compiled arch=gfx1100 opt=O3
	.text
	.amdgcn_target "amdgcn-amd-amdhsa--gfx1100"
	.amdhsa_code_object_version 6
	.protected	fft_rtc_back_len663_factors_17_13_3_wgs_51_tpt_51_dp_op_CI_CI_unitstride_sbrr_dirReg ; -- Begin function fft_rtc_back_len663_factors_17_13_3_wgs_51_tpt_51_dp_op_CI_CI_unitstride_sbrr_dirReg
	.globl	fft_rtc_back_len663_factors_17_13_3_wgs_51_tpt_51_dp_op_CI_CI_unitstride_sbrr_dirReg
	.p2align	8
	.type	fft_rtc_back_len663_factors_17_13_3_wgs_51_tpt_51_dp_op_CI_CI_unitstride_sbrr_dirReg,@function
fft_rtc_back_len663_factors_17_13_3_wgs_51_tpt_51_dp_op_CI_CI_unitstride_sbrr_dirReg: ; @fft_rtc_back_len663_factors_17_13_3_wgs_51_tpt_51_dp_op_CI_CI_unitstride_sbrr_dirReg
; %bb.0:
	s_clause 0x2
	s_load_b128 s[4:7], s[0:1], 0x0
	s_load_b128 s[8:11], s[0:1], 0x58
	;; [unrolled: 1-line block ×3, first 2 shown]
	v_mul_u32_u24_e32 v1, 0x506, v0
	v_mov_b32_e32 v3, 0
	s_delay_alu instid0(VALU_DEP_2) | instskip(NEXT) | instid1(VALU_DEP_1)
	v_lshrrev_b32_e32 v1, 16, v1
	v_add_nc_u32_e32 v5, s15, v1
	v_mov_b32_e32 v1, 0
	v_mov_b32_e32 v2, 0
	;; [unrolled: 1-line block ×3, first 2 shown]
	s_waitcnt lgkmcnt(0)
	v_cmp_lt_u64_e64 s2, s[6:7], 2
	s_delay_alu instid0(VALU_DEP_1)
	s_and_b32 vcc_lo, exec_lo, s2
	s_cbranch_vccnz .LBB0_8
; %bb.1:
	s_load_b64 s[2:3], s[0:1], 0x10
	v_mov_b32_e32 v1, 0
	v_mov_b32_e32 v2, 0
	s_add_u32 s12, s18, 8
	s_addc_u32 s13, s19, 0
	s_add_u32 s14, s16, 8
	s_addc_u32 s15, s17, 0
	v_dual_mov_b32 v77, v2 :: v_dual_mov_b32 v76, v1
	s_mov_b64 s[22:23], 1
	s_waitcnt lgkmcnt(0)
	s_add_u32 s20, s2, 8
	s_addc_u32 s21, s3, 0
.LBB0_2:                                ; =>This Inner Loop Header: Depth=1
	s_load_b64 s[24:25], s[20:21], 0x0
                                        ; implicit-def: $vgpr80_vgpr81
	s_mov_b32 s2, exec_lo
	s_waitcnt lgkmcnt(0)
	v_or_b32_e32 v4, s25, v6
	s_delay_alu instid0(VALU_DEP_1)
	v_cmpx_ne_u64_e32 0, v[3:4]
	s_xor_b32 s3, exec_lo, s2
	s_cbranch_execz .LBB0_4
; %bb.3:                                ;   in Loop: Header=BB0_2 Depth=1
	v_cvt_f32_u32_e32 v4, s24
	v_cvt_f32_u32_e32 v7, s25
	s_sub_u32 s2, 0, s24
	s_subb_u32 s26, 0, s25
	s_delay_alu instid0(VALU_DEP_1) | instskip(NEXT) | instid1(VALU_DEP_1)
	v_fmac_f32_e32 v4, 0x4f800000, v7
	v_rcp_f32_e32 v4, v4
	s_waitcnt_depctr 0xfff
	v_mul_f32_e32 v4, 0x5f7ffffc, v4
	s_delay_alu instid0(VALU_DEP_1) | instskip(NEXT) | instid1(VALU_DEP_1)
	v_mul_f32_e32 v7, 0x2f800000, v4
	v_trunc_f32_e32 v7, v7
	s_delay_alu instid0(VALU_DEP_1) | instskip(SKIP_1) | instid1(VALU_DEP_2)
	v_fmac_f32_e32 v4, 0xcf800000, v7
	v_cvt_u32_f32_e32 v7, v7
	v_cvt_u32_f32_e32 v4, v4
	s_delay_alu instid0(VALU_DEP_2) | instskip(NEXT) | instid1(VALU_DEP_2)
	v_mul_lo_u32 v8, s2, v7
	v_mul_hi_u32 v9, s2, v4
	v_mul_lo_u32 v10, s26, v4
	s_delay_alu instid0(VALU_DEP_2) | instskip(SKIP_1) | instid1(VALU_DEP_2)
	v_add_nc_u32_e32 v8, v9, v8
	v_mul_lo_u32 v9, s2, v4
	v_add_nc_u32_e32 v8, v8, v10
	s_delay_alu instid0(VALU_DEP_2) | instskip(NEXT) | instid1(VALU_DEP_2)
	v_mul_hi_u32 v10, v4, v9
	v_mul_lo_u32 v11, v4, v8
	v_mul_hi_u32 v12, v4, v8
	v_mul_hi_u32 v13, v7, v9
	v_mul_lo_u32 v9, v7, v9
	v_mul_hi_u32 v14, v7, v8
	v_mul_lo_u32 v8, v7, v8
	v_add_co_u32 v10, vcc_lo, v10, v11
	v_add_co_ci_u32_e32 v11, vcc_lo, 0, v12, vcc_lo
	s_delay_alu instid0(VALU_DEP_2) | instskip(NEXT) | instid1(VALU_DEP_2)
	v_add_co_u32 v9, vcc_lo, v10, v9
	v_add_co_ci_u32_e32 v9, vcc_lo, v11, v13, vcc_lo
	v_add_co_ci_u32_e32 v10, vcc_lo, 0, v14, vcc_lo
	s_delay_alu instid0(VALU_DEP_2) | instskip(NEXT) | instid1(VALU_DEP_2)
	v_add_co_u32 v8, vcc_lo, v9, v8
	v_add_co_ci_u32_e32 v9, vcc_lo, 0, v10, vcc_lo
	s_delay_alu instid0(VALU_DEP_2) | instskip(NEXT) | instid1(VALU_DEP_2)
	v_add_co_u32 v4, vcc_lo, v4, v8
	v_add_co_ci_u32_e32 v7, vcc_lo, v7, v9, vcc_lo
	s_delay_alu instid0(VALU_DEP_2) | instskip(SKIP_1) | instid1(VALU_DEP_3)
	v_mul_hi_u32 v8, s2, v4
	v_mul_lo_u32 v10, s26, v4
	v_mul_lo_u32 v9, s2, v7
	s_delay_alu instid0(VALU_DEP_1) | instskip(SKIP_1) | instid1(VALU_DEP_2)
	v_add_nc_u32_e32 v8, v8, v9
	v_mul_lo_u32 v9, s2, v4
	v_add_nc_u32_e32 v8, v8, v10
	s_delay_alu instid0(VALU_DEP_2) | instskip(NEXT) | instid1(VALU_DEP_2)
	v_mul_hi_u32 v10, v4, v9
	v_mul_lo_u32 v11, v4, v8
	v_mul_hi_u32 v12, v4, v8
	v_mul_hi_u32 v13, v7, v9
	v_mul_lo_u32 v9, v7, v9
	v_mul_hi_u32 v14, v7, v8
	v_mul_lo_u32 v8, v7, v8
	v_add_co_u32 v10, vcc_lo, v10, v11
	v_add_co_ci_u32_e32 v11, vcc_lo, 0, v12, vcc_lo
	s_delay_alu instid0(VALU_DEP_2) | instskip(NEXT) | instid1(VALU_DEP_2)
	v_add_co_u32 v9, vcc_lo, v10, v9
	v_add_co_ci_u32_e32 v9, vcc_lo, v11, v13, vcc_lo
	v_add_co_ci_u32_e32 v10, vcc_lo, 0, v14, vcc_lo
	s_delay_alu instid0(VALU_DEP_2) | instskip(NEXT) | instid1(VALU_DEP_2)
	v_add_co_u32 v8, vcc_lo, v9, v8
	v_add_co_ci_u32_e32 v9, vcc_lo, 0, v10, vcc_lo
	s_delay_alu instid0(VALU_DEP_2) | instskip(NEXT) | instid1(VALU_DEP_2)
	v_add_co_u32 v4, vcc_lo, v4, v8
	v_add_co_ci_u32_e32 v13, vcc_lo, v7, v9, vcc_lo
	s_delay_alu instid0(VALU_DEP_2) | instskip(SKIP_1) | instid1(VALU_DEP_3)
	v_mul_hi_u32 v14, v5, v4
	v_mad_u64_u32 v[9:10], null, v6, v4, 0
	v_mad_u64_u32 v[7:8], null, v5, v13, 0
	;; [unrolled: 1-line block ×3, first 2 shown]
	s_delay_alu instid0(VALU_DEP_2) | instskip(NEXT) | instid1(VALU_DEP_3)
	v_add_co_u32 v4, vcc_lo, v14, v7
	v_add_co_ci_u32_e32 v7, vcc_lo, 0, v8, vcc_lo
	s_delay_alu instid0(VALU_DEP_2) | instskip(NEXT) | instid1(VALU_DEP_2)
	v_add_co_u32 v4, vcc_lo, v4, v9
	v_add_co_ci_u32_e32 v4, vcc_lo, v7, v10, vcc_lo
	v_add_co_ci_u32_e32 v7, vcc_lo, 0, v12, vcc_lo
	s_delay_alu instid0(VALU_DEP_2) | instskip(NEXT) | instid1(VALU_DEP_2)
	v_add_co_u32 v4, vcc_lo, v4, v11
	v_add_co_ci_u32_e32 v9, vcc_lo, 0, v7, vcc_lo
	s_delay_alu instid0(VALU_DEP_2) | instskip(SKIP_1) | instid1(VALU_DEP_3)
	v_mul_lo_u32 v10, s25, v4
	v_mad_u64_u32 v[7:8], null, s24, v4, 0
	v_mul_lo_u32 v11, s24, v9
	s_delay_alu instid0(VALU_DEP_2) | instskip(NEXT) | instid1(VALU_DEP_2)
	v_sub_co_u32 v7, vcc_lo, v5, v7
	v_add3_u32 v8, v8, v11, v10
	s_delay_alu instid0(VALU_DEP_1) | instskip(NEXT) | instid1(VALU_DEP_1)
	v_sub_nc_u32_e32 v10, v6, v8
	v_subrev_co_ci_u32_e64 v10, s2, s25, v10, vcc_lo
	v_add_co_u32 v11, s2, v4, 2
	s_delay_alu instid0(VALU_DEP_1) | instskip(SKIP_3) | instid1(VALU_DEP_3)
	v_add_co_ci_u32_e64 v12, s2, 0, v9, s2
	v_sub_co_u32 v13, s2, v7, s24
	v_sub_co_ci_u32_e32 v8, vcc_lo, v6, v8, vcc_lo
	v_subrev_co_ci_u32_e64 v10, s2, 0, v10, s2
	v_cmp_le_u32_e32 vcc_lo, s24, v13
	s_delay_alu instid0(VALU_DEP_3) | instskip(SKIP_1) | instid1(VALU_DEP_4)
	v_cmp_eq_u32_e64 s2, s25, v8
	v_cndmask_b32_e64 v13, 0, -1, vcc_lo
	v_cmp_le_u32_e32 vcc_lo, s25, v10
	v_cndmask_b32_e64 v14, 0, -1, vcc_lo
	v_cmp_le_u32_e32 vcc_lo, s24, v7
	;; [unrolled: 2-line block ×3, first 2 shown]
	v_cndmask_b32_e64 v15, 0, -1, vcc_lo
	v_cmp_eq_u32_e32 vcc_lo, s25, v10
	s_delay_alu instid0(VALU_DEP_2) | instskip(SKIP_3) | instid1(VALU_DEP_3)
	v_cndmask_b32_e64 v7, v15, v7, s2
	v_cndmask_b32_e32 v10, v14, v13, vcc_lo
	v_add_co_u32 v13, vcc_lo, v4, 1
	v_add_co_ci_u32_e32 v14, vcc_lo, 0, v9, vcc_lo
	v_cmp_ne_u32_e32 vcc_lo, 0, v10
	s_delay_alu instid0(VALU_DEP_2) | instskip(NEXT) | instid1(VALU_DEP_4)
	v_cndmask_b32_e32 v8, v14, v12, vcc_lo
	v_cndmask_b32_e32 v10, v13, v11, vcc_lo
	v_cmp_ne_u32_e32 vcc_lo, 0, v7
	s_delay_alu instid0(VALU_DEP_2)
	v_dual_cndmask_b32 v81, v9, v8 :: v_dual_cndmask_b32 v80, v4, v10
.LBB0_4:                                ;   in Loop: Header=BB0_2 Depth=1
	s_and_not1_saveexec_b32 s2, s3
	s_cbranch_execz .LBB0_6
; %bb.5:                                ;   in Loop: Header=BB0_2 Depth=1
	v_cvt_f32_u32_e32 v4, s24
	s_sub_i32 s3, 0, s24
	v_mov_b32_e32 v81, v3
	s_delay_alu instid0(VALU_DEP_2) | instskip(SKIP_2) | instid1(VALU_DEP_1)
	v_rcp_iflag_f32_e32 v4, v4
	s_waitcnt_depctr 0xfff
	v_mul_f32_e32 v4, 0x4f7ffffe, v4
	v_cvt_u32_f32_e32 v4, v4
	s_delay_alu instid0(VALU_DEP_1) | instskip(NEXT) | instid1(VALU_DEP_1)
	v_mul_lo_u32 v7, s3, v4
	v_mul_hi_u32 v7, v4, v7
	s_delay_alu instid0(VALU_DEP_1) | instskip(NEXT) | instid1(VALU_DEP_1)
	v_add_nc_u32_e32 v4, v4, v7
	v_mul_hi_u32 v4, v5, v4
	s_delay_alu instid0(VALU_DEP_1) | instskip(SKIP_1) | instid1(VALU_DEP_2)
	v_mul_lo_u32 v7, v4, s24
	v_add_nc_u32_e32 v8, 1, v4
	v_sub_nc_u32_e32 v7, v5, v7
	s_delay_alu instid0(VALU_DEP_1) | instskip(SKIP_1) | instid1(VALU_DEP_2)
	v_subrev_nc_u32_e32 v9, s24, v7
	v_cmp_le_u32_e32 vcc_lo, s24, v7
	v_dual_cndmask_b32 v7, v7, v9 :: v_dual_cndmask_b32 v4, v4, v8
	s_delay_alu instid0(VALU_DEP_1) | instskip(NEXT) | instid1(VALU_DEP_2)
	v_cmp_le_u32_e32 vcc_lo, s24, v7
	v_add_nc_u32_e32 v8, 1, v4
	s_delay_alu instid0(VALU_DEP_1)
	v_cndmask_b32_e32 v80, v4, v8, vcc_lo
.LBB0_6:                                ;   in Loop: Header=BB0_2 Depth=1
	s_or_b32 exec_lo, exec_lo, s2
	s_delay_alu instid0(VALU_DEP_1) | instskip(NEXT) | instid1(VALU_DEP_2)
	v_mul_lo_u32 v4, v81, s24
	v_mul_lo_u32 v9, v80, s25
	s_load_b64 s[2:3], s[14:15], 0x0
	v_mad_u64_u32 v[7:8], null, v80, s24, 0
	s_load_b64 s[24:25], s[12:13], 0x0
	s_add_u32 s22, s22, 1
	s_addc_u32 s23, s23, 0
	s_add_u32 s12, s12, 8
	s_addc_u32 s13, s13, 0
	s_add_u32 s14, s14, 8
	s_delay_alu instid0(VALU_DEP_1) | instskip(SKIP_3) | instid1(VALU_DEP_2)
	v_add3_u32 v4, v8, v9, v4
	v_sub_co_u32 v8, vcc_lo, v5, v7
	s_addc_u32 s15, s15, 0
	s_add_u32 s20, s20, 8
	v_sub_co_ci_u32_e32 v6, vcc_lo, v6, v4, vcc_lo
	s_addc_u32 s21, s21, 0
	s_waitcnt lgkmcnt(0)
	s_delay_alu instid0(VALU_DEP_1)
	v_mul_lo_u32 v9, s2, v6
	v_mul_lo_u32 v10, s3, v8
	v_mad_u64_u32 v[4:5], null, s2, v8, v[1:2]
	v_mul_lo_u32 v11, s24, v6
	v_mul_lo_u32 v12, s25, v8
	v_mad_u64_u32 v[6:7], null, s24, v8, v[76:77]
	v_cmp_ge_u64_e64 s2, s[22:23], s[6:7]
	v_add3_u32 v2, v10, v5, v9
	s_delay_alu instid0(VALU_DEP_3) | instskip(NEXT) | instid1(VALU_DEP_4)
	v_dual_mov_b32 v1, v4 :: v_dual_mov_b32 v76, v6
	v_add3_u32 v77, v12, v7, v11
	s_delay_alu instid0(VALU_DEP_4)
	s_and_b32 vcc_lo, exec_lo, s2
	s_cbranch_vccnz .LBB0_9
; %bb.7:                                ;   in Loop: Header=BB0_2 Depth=1
	v_dual_mov_b32 v5, v80 :: v_dual_mov_b32 v6, v81
	s_branch .LBB0_2
.LBB0_8:
	v_dual_mov_b32 v77, v2 :: v_dual_mov_b32 v76, v1
	v_dual_mov_b32 v81, v6 :: v_dual_mov_b32 v80, v5
.LBB0_9:
	s_load_b64 s[0:1], s[0:1], 0x28
	v_mul_hi_u32 v3, 0x5050506, v0
	s_lshl_b64 s[6:7], s[6:7], 3
                                        ; implicit-def: $vgpr14_vgpr15
                                        ; implicit-def: $vgpr18_vgpr19
                                        ; implicit-def: $vgpr22_vgpr23
                                        ; implicit-def: $vgpr26_vgpr27
                                        ; implicit-def: $vgpr50_vgpr51
                                        ; implicit-def: $vgpr54_vgpr55
                                        ; implicit-def: $vgpr58_vgpr59
                                        ; implicit-def: $vgpr62_vgpr63
                                        ; implicit-def: $vgpr66_vgpr67
                                        ; implicit-def: $vgpr70_vgpr71
                                        ; implicit-def: $vgpr74_vgpr75
                                        ; implicit-def: $vgpr46_vgpr47
                                        ; implicit-def: $vgpr42_vgpr43
                                        ; implicit-def: $vgpr38_vgpr39
                                        ; implicit-def: $vgpr34_vgpr35
                                        ; implicit-def: $vgpr30_vgpr31
                                        ; implicit-def: $vgpr10_vgpr11
	s_delay_alu instid0(SALU_CYCLE_1) | instskip(SKIP_1) | instid1(VALU_DEP_1)
	s_add_u32 s2, s18, s6
	s_addc_u32 s3, s19, s7
	v_mul_u32_u24_e32 v3, 51, v3
	s_delay_alu instid0(VALU_DEP_1) | instskip(SKIP_2) | instid1(VALU_DEP_2)
	v_sub_nc_u32_e32 v78, v0, v3
	s_waitcnt lgkmcnt(0)
	v_cmp_gt_u64_e32 vcc_lo, s[0:1], v[80:81]
	v_cmp_gt_u32_e64 s0, 39, v78
	s_delay_alu instid0(VALU_DEP_1) | instskip(NEXT) | instid1(SALU_CYCLE_1)
	s_and_b32 s1, vcc_lo, s0
	s_and_saveexec_b32 s12, s1
	s_cbranch_execz .LBB0_11
; %bb.10:
	s_add_u32 s6, s16, s6
	s_addc_u32 s7, s17, s7
	v_mov_b32_e32 v79, 0
	s_load_b64 s[6:7], s[6:7], 0x0
	s_waitcnt lgkmcnt(0)
	v_mul_lo_u32 v0, s7, v80
	v_mul_lo_u32 v5, s6, v81
	v_mad_u64_u32 v[3:4], null, s6, v80, 0
	s_delay_alu instid0(VALU_DEP_1) | instskip(SKIP_1) | instid1(VALU_DEP_2)
	v_add3_u32 v4, v4, v5, v0
	v_lshlrev_b64 v[0:1], 4, v[1:2]
	v_lshlrev_b64 v[3:4], 4, v[3:4]
	s_delay_alu instid0(VALU_DEP_1) | instskip(NEXT) | instid1(VALU_DEP_1)
	v_add_co_u32 v5, s1, s8, v3
	v_add_co_ci_u32_e64 v4, s1, s9, v4, s1
	v_lshlrev_b64 v[2:3], 4, v[78:79]
	s_delay_alu instid0(VALU_DEP_3) | instskip(NEXT) | instid1(VALU_DEP_1)
	v_add_co_u32 v0, s1, v5, v0
	v_add_co_ci_u32_e64 v1, s1, v4, v1, s1
	s_delay_alu instid0(VALU_DEP_2) | instskip(NEXT) | instid1(VALU_DEP_1)
	v_add_co_u32 v0, s1, v0, v2
	v_add_co_ci_u32_e64 v1, s1, v1, v3, s1
	s_clause 0x5
	global_load_b128 v[8:11], v[0:1], off
	global_load_b128 v[28:31], v[0:1], off offset:624
	global_load_b128 v[32:35], v[0:1], off offset:1248
	;; [unrolled: 1-line block ×5, first 2 shown]
	v_add_co_u32 v2, s1, 0x1000, v0
	s_delay_alu instid0(VALU_DEP_1) | instskip(SKIP_1) | instid1(VALU_DEP_1)
	v_add_co_ci_u32_e64 v3, s1, 0, v1, s1
	v_add_co_u32 v4, s1, 0x2000, v0
	v_add_co_ci_u32_e64 v5, s1, 0, v1, s1
	s_clause 0xa
	global_load_b128 v[72:75], v[0:1], off offset:3744
	global_load_b128 v[68:71], v[2:3], off offset:272
	;; [unrolled: 1-line block ×11, first 2 shown]
.LBB0_11:
	s_or_b32 exec_lo, exec_lo, s12
	s_waitcnt vmcnt(0)
	v_add_f64 v[138:139], v[30:31], -v[14:15]
	v_add_f64 v[140:141], v[28:29], -v[12:13]
	s_mov_b32 s6, 0x7c9e640b
	s_mov_b32 s20, 0xeb564b22
	;; [unrolled: 1-line block ×4, first 2 shown]
	v_add_f64 v[144:145], v[12:13], v[28:29]
	v_add_f64 v[82:83], v[34:35], -v[18:19]
	v_add_f64 v[142:143], v[14:15], v[30:31]
	v_add_f64 v[84:85], v[32:33], -v[16:17]
	s_mov_b32 s8, 0x2b2883cd
	s_mov_b32 s46, 0x6c9a05f6
	;; [unrolled: 1-line block ×8, first 2 shown]
	v_add_f64 v[114:115], v[16:17], v[32:33]
	v_add_f64 v[88:89], v[18:19], v[34:35]
	v_add_f64 v[86:87], v[38:39], -v[22:23]
	v_add_f64 v[112:113], v[36:37], -v[20:21]
	s_mov_b32 s18, 0x6ed5f1bb
	s_mov_b32 s14, 0x7faef3
	;; [unrolled: 1-line block ×8, first 2 shown]
	v_add_f64 v[118:119], v[20:21], v[36:37]
	v_add_f64 v[92:93], v[22:23], v[38:39]
	v_add_f64 v[90:91], v[42:43], -v[26:27]
	v_add_f64 v[116:117], v[40:41], -v[24:25]
	s_mov_b32 s22, 0xc61f0d01
	s_mov_b32 s40, 0x5d8e7cdc
	;; [unrolled: 1-line block ×4, first 2 shown]
	v_mul_f64 v[202:203], v[138:139], s[6:7]
	v_mul_f64 v[204:205], v[140:141], s[6:7]
	;; [unrolled: 1-line block ×4, first 2 shown]
	v_add_f64 v[122:123], v[24:25], v[40:41]
	v_add_f64 v[96:97], v[26:27], v[42:43]
	v_add_f64 v[94:95], v[46:47], -v[50:51]
	v_mul_f64 v[154:155], v[82:83], s[46:47]
	v_mul_f64 v[146:147], v[82:83], s[44:45]
	;; [unrolled: 1-line block ×4, first 2 shown]
	v_add_f64 v[120:121], v[44:45], -v[48:49]
	s_mov_b32 s36, 0x2a9d6da3
	s_mov_b32 s26, 0x370991
	;; [unrolled: 1-line block ×4, first 2 shown]
	v_add_f64 v[126:127], v[48:49], v[44:45]
	v_add_f64 v[124:125], v[72:73], -v[52:53]
	s_mov_b32 s42, 0x75d4884
	s_mov_b32 s30, 0x4363dd80
	v_mul_f64 v[164:165], v[86:87], s[16:17]
	v_mul_f64 v[166:167], v[112:113], s[16:17]
	;; [unrolled: 1-line block ×4, first 2 shown]
	s_mov_b32 s43, 0x3fe7a5f6
	s_mov_b32 s29, 0xbfd71e95
	;; [unrolled: 1-line block ×4, first 2 shown]
	v_add_f64 v[130:131], v[52:53], v[72:73]
	s_mov_b32 s34, 0x910ea3b9
	s_mov_b32 s35, 0xbfeb34fa
	;; [unrolled: 1-line block ×3, first 2 shown]
	v_mul_f64 v[172:173], v[90:91], s[24:25]
	v_mul_f64 v[176:177], v[116:117], s[24:25]
	;; [unrolled: 1-line block ×4, first 2 shown]
	s_mov_b32 s38, s46
	v_fma_f64 v[0:1], v[144:145], s[8:9], -v[202:203]
	v_fma_f64 v[2:3], v[142:143], s[8:9], v[204:205]
	v_fma_f64 v[4:5], v[144:145], s[12:13], -v[206:207]
	v_fma_f64 v[6:7], v[142:143], s[12:13], v[208:209]
	v_mul_f64 v[180:181], v[94:95], s[36:37]
	v_fma_f64 v[98:99], v[114:115], s[18:19], -v[154:155]
	v_fma_f64 v[102:103], v[114:115], s[14:15], -v[146:147]
	v_fma_f64 v[100:101], v[88:89], s[18:19], v[158:159]
	v_fma_f64 v[104:105], v[88:89], s[14:15], v[148:149]
	v_mul_f64 v[184:185], v[120:121], s[36:37]
	v_mul_f64 v[162:163], v[94:95], s[6:7]
	v_mul_f64 v[168:169], v[120:121], s[6:7]
	v_mul_f64 v[192:193], v[124:125], s[28:29]
	v_mul_f64 v[174:175], v[124:125], s[30:31]
	v_fma_f64 v[106:107], v[118:119], s[14:15], -v[164:165]
	v_fma_f64 v[108:109], v[92:93], s[14:15], v[166:167]
	v_fma_f64 v[110:111], v[118:119], s[22:23], -v[150:151]
	v_fma_f64 v[128:129], v[92:93], s[22:23], v[152:153]
	;; [unrolled: 2-line block ×4, first 2 shown]
	v_add_f64 v[0:1], v[8:9], v[0:1]
	v_add_f64 v[2:3], v[10:11], v[2:3]
	;; [unrolled: 1-line block ×4, first 2 shown]
	v_fma_f64 v[188:189], v[126:127], s[8:9], -v[162:163]
	v_add_f64 v[0:1], v[98:99], v[0:1]
	v_add_f64 v[2:3], v[100:101], v[2:3]
	;; [unrolled: 1-line block ×5, first 2 shown]
	v_add_f64 v[98:99], v[74:75], -v[54:55]
	v_add_f64 v[104:105], v[54:55], v[74:75]
	v_add_f64 v[102:103], v[70:71], -v[58:59]
	v_add_f64 v[0:1], v[106:107], v[0:1]
	v_add_f64 v[2:3], v[108:109], v[2:3]
	;; [unrolled: 1-line block ×4, first 2 shown]
	v_add_f64 v[128:129], v[68:69], -v[56:57]
	v_mul_f64 v[190:191], v[98:99], s[28:29]
	v_mul_f64 v[170:171], v[98:99], s[30:31]
	v_fma_f64 v[110:111], v[126:127], s[42:43], -v[180:181]
	v_fma_f64 v[186:187], v[100:101], s[42:43], v[184:185]
	v_fma_f64 v[198:199], v[100:101], s[8:9], v[168:169]
	v_add_f64 v[108:109], v[58:59], v[70:71]
	v_add_f64 v[106:107], v[66:67], -v[62:63]
	v_mul_f64 v[194:195], v[102:103], s[20:21]
	v_fma_f64 v[212:213], v[104:105], s[26:27], v[192:193]
	v_fma_f64 v[216:217], v[104:105], s[34:35], v[174:175]
	v_add_f64 v[0:1], v[132:133], v[0:1]
	v_add_f64 v[2:3], v[134:135], v[2:3]
	;; [unrolled: 1-line block ×5, first 2 shown]
	v_add_f64 v[132:133], v[64:65], -v[60:61]
	v_mul_f64 v[196:197], v[128:129], s[20:21]
	v_mul_f64 v[178:179], v[102:103], s[38:39]
	;; [unrolled: 1-line block ×3, first 2 shown]
	v_fma_f64 v[210:211], v[130:131], s[26:27], -v[190:191]
	v_fma_f64 v[214:215], v[130:131], s[34:35], -v[170:171]
	v_add_f64 v[136:137], v[60:61], v[64:65]
	v_add_f64 v[0:1], v[110:111], v[0:1]
	;; [unrolled: 1-line block ×6, first 2 shown]
	v_mul_f64 v[198:199], v[106:107], s[30:31]
	v_mul_f64 v[200:201], v[132:133], s[30:31]
	;; [unrolled: 1-line block ×4, first 2 shown]
	v_fma_f64 v[218:219], v[134:135], s[12:13], -v[194:195]
	v_fma_f64 v[220:221], v[108:109], s[12:13], v[196:197]
	v_fma_f64 v[222:223], v[134:135], s[18:19], -v[178:179]
	v_fma_f64 v[224:225], v[108:109], s[18:19], v[182:183]
	v_add_f64 v[0:1], v[210:211], v[0:1]
	v_add_f64 v[2:3], v[212:213], v[2:3]
	;; [unrolled: 1-line block ×4, first 2 shown]
	v_fma_f64 v[210:211], v[136:137], s[34:35], -v[198:199]
	v_fma_f64 v[212:213], v[110:111], s[34:35], v[200:201]
	v_fma_f64 v[214:215], v[136:137], s[42:43], -v[186:187]
	v_fma_f64 v[216:217], v[110:111], s[42:43], v[188:189]
	v_add_f64 v[0:1], v[218:219], v[0:1]
	v_add_f64 v[2:3], v[220:221], v[2:3]
	;; [unrolled: 1-line block ×4, first 2 shown]
	s_delay_alu instid0(VALU_DEP_4) | instskip(NEXT) | instid1(VALU_DEP_4)
	v_add_f64 v[4:5], v[210:211], v[0:1]
	v_add_f64 v[6:7], v[212:213], v[2:3]
	s_delay_alu instid0(VALU_DEP_4) | instskip(NEXT) | instid1(VALU_DEP_4)
	v_add_f64 v[0:1], v[214:215], v[218:219]
	v_add_f64 v[2:3], v[216:217], v[220:221]
	scratch_store_b128 off, v[0:3], off     ; 16-byte Folded Spill
	s_and_saveexec_b32 s33, s0
	s_cbranch_execz .LBB0_13
; %bb.12:
	v_add_f64 v[30:31], v[30:31], v[10:11]
	v_add_f64 v[28:29], v[28:29], v[8:9]
	s_mov_b32 s1, 0xbfeec746
	s_mov_b32 s0, s24
	;; [unrolled: 1-line block ×10, first 2 shown]
	v_mul_f64 v[214:215], v[136:137], s[12:13]
	v_mul_f64 v[212:213], v[132:133], s[52:53]
	;; [unrolled: 1-line block ×9, first 2 shown]
	v_mad_u32_u24 v0, 0x110, v78, 0
	v_add_f64 v[30:31], v[34:35], v[30:31]
	v_add_f64 v[28:29], v[32:33], v[28:29]
	v_mul_f64 v[32:33], v[144:145], s[42:43]
	v_mul_f64 v[34:35], v[144:145], s[26:27]
	s_delay_alu instid0(VALU_DEP_4) | instskip(NEXT) | instid1(VALU_DEP_4)
	v_add_f64 v[30:31], v[38:39], v[30:31]
	v_add_f64 v[28:29], v[36:37], v[28:29]
	s_delay_alu instid0(VALU_DEP_2) | instskip(NEXT) | instid1(VALU_DEP_2)
	v_add_f64 v[30:31], v[42:43], v[30:31]
	v_add_f64 v[28:29], v[40:41], v[28:29]
	s_delay_alu instid0(VALU_DEP_2) | instskip(NEXT) | instid1(VALU_DEP_2)
	v_add_f64 v[30:31], v[46:47], v[30:31]
	v_add_f64 v[28:29], v[44:45], v[28:29]
	v_fma_f64 v[44:45], v[138:139], s[36:37], v[32:33]
	v_fma_f64 v[32:33], v[138:139], s[50:51], v[32:33]
	;; [unrolled: 1-line block ×4, first 2 shown]
	v_add_f64 v[30:31], v[74:75], v[30:31]
	v_add_f64 v[28:29], v[72:73], v[28:29]
	s_delay_alu instid0(VALU_DEP_2) | instskip(NEXT) | instid1(VALU_DEP_2)
	v_add_f64 v[30:31], v[70:71], v[30:31]
	v_add_f64 v[28:29], v[68:69], v[28:29]
	s_delay_alu instid0(VALU_DEP_2) | instskip(NEXT) | instid1(VALU_DEP_2)
	;; [unrolled: 3-line block ×4, first 2 shown]
	v_add_f64 v[30:31], v[58:59], v[30:31]
	v_add_f64 v[28:29], v[56:57], v[28:29]
	v_mul_f64 v[56:57], v[140:141], s[0:1]
	v_mul_f64 v[58:59], v[140:141], s[50:51]
	s_delay_alu instid0(VALU_DEP_4) | instskip(NEXT) | instid1(VALU_DEP_4)
	v_add_f64 v[30:31], v[54:55], v[30:31]
	v_add_f64 v[28:29], v[52:53], v[28:29]
	v_mul_f64 v[52:53], v[140:141], s[46:47]
	v_mul_f64 v[54:55], v[140:141], s[28:29]
	v_fma_f64 v[68:69], v[142:143], s[22:23], v[56:57]
	v_fma_f64 v[56:57], v[142:143], s[22:23], -v[56:57]
	v_fma_f64 v[70:71], v[142:143], s[42:43], v[58:59]
	v_fma_f64 v[58:59], v[142:143], s[42:43], -v[58:59]
	v_add_f64 v[30:31], v[50:51], v[30:31]
	v_add_f64 v[28:29], v[48:49], v[28:29]
	v_mul_f64 v[48:49], v[140:141], s[44:45]
	v_mul_f64 v[50:51], v[140:141], s[30:31]
	v_fma_f64 v[64:65], v[142:143], s[18:19], v[52:53]
	v_fma_f64 v[52:53], v[142:143], s[18:19], -v[52:53]
	v_fma_f64 v[66:67], v[142:143], s[26:27], v[54:55]
	v_fma_f64 v[54:55], v[142:143], s[26:27], -v[54:55]
	v_add_f64 v[68:69], v[10:11], v[68:69]
	v_add_f64 v[26:27], v[26:27], v[30:31]
	;; [unrolled: 1-line block ×3, first 2 shown]
	v_mul_f64 v[30:31], v[144:145], s[22:23]
	v_mul_f64 v[28:29], v[144:145], s[18:19]
	v_fma_f64 v[60:61], v[142:143], s[14:15], v[48:49]
	v_fma_f64 v[48:49], v[142:143], s[14:15], -v[48:49]
	v_fma_f64 v[62:63], v[142:143], s[34:35], v[50:51]
	v_fma_f64 v[50:51], v[142:143], s[34:35], -v[50:51]
	v_add_f64 v[64:65], v[10:11], v[64:65]
	v_add_f64 v[66:67], v[10:11], v[66:67]
	;; [unrolled: 1-line block ×4, first 2 shown]
	v_mul_f64 v[24:25], v[144:145], s[14:15]
	v_mul_f64 v[26:27], v[144:145], s[34:35]
	v_fma_f64 v[42:43], v[138:139], s[24:25], v[30:31]
	v_fma_f64 v[40:41], v[138:139], s[38:39], v[28:29]
	;; [unrolled: 1-line block ×4, first 2 shown]
	v_add_f64 v[60:61], v[10:11], v[60:61]
	v_add_f64 v[48:49], v[10:11], v[48:49]
	;; [unrolled: 1-line block ×6, first 2 shown]
	v_mul_f64 v[20:21], v[142:143], s[8:9]
	v_mul_f64 v[22:23], v[144:145], s[8:9]
	v_fma_f64 v[36:37], v[138:139], s[16:17], v[24:25]
	v_fma_f64 v[24:25], v[138:139], s[44:45], v[24:25]
	;; [unrolled: 1-line block ×4, first 2 shown]
	v_add_f64 v[140:141], v[8:9], v[42:43]
	v_add_f64 v[138:139], v[8:9], v[40:41]
	;; [unrolled: 1-line block ×5, first 2 shown]
	v_mul_f64 v[16:17], v[142:143], s[12:13]
	v_mul_f64 v[18:19], v[144:145], s[12:13]
	v_add_f64 v[20:21], v[20:21], -v[204:205]
	v_add_f64 v[22:23], v[202:203], v[22:23]
	v_add_f64 v[36:37], v[8:9], v[36:37]
	;; [unrolled: 1-line block ×13, first 2 shown]
	v_mul_f64 v[34:35], v[112:113], s[30:31]
	v_add_f64 v[16:17], v[16:17], -v[208:209]
	v_add_f64 v[18:19], v[206:207], v[18:19]
	v_add_f64 v[28:29], v[10:11], v[20:21]
	;; [unrolled: 1-line block ×7, first 2 shown]
	v_mul_f64 v[16:17], v[84:85], s[40:41]
	v_mul_f64 v[18:19], v[114:115], s[26:27]
	s_delay_alu instid0(VALU_DEP_2) | instskip(NEXT) | instid1(VALU_DEP_2)
	v_fma_f64 v[8:9], v[88:89], s[26:27], v[16:17]
	v_fma_f64 v[10:11], v[82:83], s[28:29], v[18:19]
	v_fma_f64 v[16:17], v[88:89], s[26:27], -v[16:17]
	v_fma_f64 v[18:19], v[82:83], s[40:41], v[18:19]
	s_delay_alu instid0(VALU_DEP_4) | instskip(NEXT) | instid1(VALU_DEP_4)
	v_add_f64 v[8:9], v[8:9], v[60:61]
	v_add_f64 v[10:11], v[10:11], v[36:37]
	v_fma_f64 v[36:37], v[92:93], s[34:35], v[34:35]
	v_add_f64 v[16:17], v[16:17], v[48:49]
	v_add_f64 v[18:19], v[18:19], v[24:25]
	v_fma_f64 v[24:25], v[92:93], s[34:35], -v[34:35]
	v_fma_f64 v[34:35], v[106:107], s[52:53], v[214:215]
	v_mul_f64 v[48:49], v[114:115], s[18:19]
	v_add_f64 v[8:9], v[36:37], v[8:9]
	v_mul_f64 v[36:37], v[118:119], s[34:35]
	v_add_f64 v[16:17], v[24:25], v[16:17]
	s_delay_alu instid0(VALU_DEP_4) | instskip(SKIP_1) | instid1(VALU_DEP_4)
	v_add_f64 v[48:49], v[154:155], v[48:49]
	v_mul_f64 v[154:155], v[104:105], s[26:27]
	v_fma_f64 v[44:45], v[86:87], s[48:49], v[36:37]
	v_fma_f64 v[24:25], v[86:87], s[30:31], v[36:37]
	v_mul_f64 v[36:37], v[88:89], s[18:19]
	v_add_f64 v[30:31], v[48:49], v[30:31]
	v_add_f64 v[154:155], v[154:155], -v[192:193]
	v_mul_f64 v[48:49], v[118:119], s[22:23]
	v_add_f64 v[10:11], v[44:45], v[10:11]
	v_mul_f64 v[44:45], v[116:117], s[36:37]
	v_add_f64 v[18:19], v[24:25], v[18:19]
	v_add_f64 v[36:37], v[36:37], -v[158:159]
	v_mul_f64 v[158:159], v[128:129], s[44:45]
	v_add_f64 v[48:49], v[150:151], v[48:49]
	v_mul_f64 v[150:151], v[120:121], s[52:53]
	v_fma_f64 v[46:47], v[96:97], s[42:43], v[44:45]
	v_fma_f64 v[24:25], v[96:97], s[42:43], -v[44:45]
	v_add_f64 v[28:29], v[36:37], v[28:29]
	v_mul_f64 v[44:45], v[122:123], s[22:23]
	v_mul_f64 v[36:37], v[130:131], s[26:27]
	v_add_f64 v[8:9], v[46:47], v[8:9]
	v_mul_f64 v[46:47], v[122:123], s[42:43]
	v_add_f64 v[16:17], v[24:25], v[16:17]
	v_add_f64 v[44:45], v[172:173], v[44:45]
	;; [unrolled: 1-line block ×3, first 2 shown]
	s_delay_alu instid0(VALU_DEP_4) | instskip(SKIP_2) | instid1(VALU_DEP_3)
	v_fma_f64 v[58:59], v[90:91], s[50:51], v[46:47]
	v_fma_f64 v[24:25], v[90:91], s[36:37], v[46:47]
	v_mul_f64 v[46:47], v[118:119], s[14:15]
	v_add_f64 v[10:11], v[58:59], v[10:11]
	v_mul_f64 v[58:59], v[120:121], s[46:47]
	s_delay_alu instid0(VALU_DEP_4) | instskip(NEXT) | instid1(VALU_DEP_4)
	v_add_f64 v[18:19], v[24:25], v[18:19]
	v_add_f64 v[46:47], v[164:165], v[46:47]
	v_mul_f64 v[164:165], v[136:137], s[8:9]
	s_delay_alu instid0(VALU_DEP_4)
	v_fma_f64 v[60:61], v[100:101], s[18:19], v[58:59]
	v_fma_f64 v[24:25], v[100:101], s[18:19], -v[58:59]
	v_mul_f64 v[58:59], v[100:101], s[42:43]
	v_add_f64 v[30:31], v[46:47], v[30:31]
	v_mul_f64 v[46:47], v[122:123], s[26:27]
	v_add_f64 v[8:9], v[60:61], v[8:9]
	;; [unrolled: 2-line block ×3, first 2 shown]
	v_add_f64 v[58:59], v[58:59], -v[184:185]
	v_add_f64 v[30:31], v[44:45], v[30:31]
	v_mul_f64 v[44:45], v[110:111], s[34:35]
	v_add_f64 v[46:47], v[156:157], v[46:47]
	v_mul_f64 v[156:157], v[130:131], s[42:43]
	v_mul_f64 v[184:185], v[132:133], s[0:1]
	v_fma_f64 v[70:71], v[94:95], s[38:39], v[60:61]
	v_fma_f64 v[24:25], v[94:95], s[46:47], v[60:61]
	v_mul_f64 v[60:61], v[126:127], s[42:43]
	v_add_f64 v[44:45], v[44:45], -v[200:201]
	s_delay_alu instid0(VALU_DEP_4) | instskip(SKIP_3) | instid1(VALU_DEP_3)
	v_add_f64 v[10:11], v[70:71], v[10:11]
	v_mul_f64 v[70:71], v[124:125], s[54:55]
	v_add_f64 v[18:19], v[24:25], v[18:19]
	v_add_f64 v[60:61], v[180:181], v[60:61]
	v_fma_f64 v[204:205], v[104:105], s[8:9], v[70:71]
	v_fma_f64 v[24:25], v[104:105], s[8:9], -v[70:71]
	v_mul_f64 v[70:71], v[84:85], s[50:51]
	s_delay_alu instid0(VALU_DEP_4)
	v_add_f64 v[30:31], v[60:61], v[30:31]
	v_mul_f64 v[60:61], v[104:105], s[34:35]
	v_add_f64 v[8:9], v[204:205], v[8:9]
	v_mul_f64 v[204:205], v[130:131], s[8:9]
	v_add_f64 v[16:17], v[24:25], v[16:17]
	v_add_f64 v[30:31], v[36:37], v[30:31]
	v_mul_f64 v[36:37], v[136:137], s[34:35]
	v_add_f64 v[60:61], v[60:61], -v[174:175]
	v_fma_f64 v[206:207], v[98:99], s[6:7], v[204:205]
	v_fma_f64 v[24:25], v[98:99], s[54:55], v[204:205]
	v_mul_f64 v[204:205], v[114:115], s[42:43]
	v_add_f64 v[36:37], v[198:199], v[36:37]
	s_delay_alu instid0(VALU_DEP_4) | instskip(SKIP_2) | instid1(VALU_DEP_2)
	v_add_f64 v[10:11], v[206:207], v[10:11]
	v_mul_f64 v[206:207], v[128:129], s[0:1]
	v_add_f64 v[18:19], v[24:25], v[18:19]
	v_fma_f64 v[208:209], v[108:109], s[22:23], v[206:207]
	v_fma_f64 v[24:25], v[108:109], s[22:23], -v[206:207]
	v_mul_f64 v[206:207], v[112:113], s[6:7]
	s_delay_alu instid0(VALU_DEP_3) | instskip(SKIP_1) | instid1(VALU_DEP_4)
	v_add_f64 v[8:9], v[208:209], v[8:9]
	v_mul_f64 v[208:209], v[134:135], s[22:23]
	v_add_f64 v[16:17], v[24:25], v[16:17]
	s_delay_alu instid0(VALU_DEP_2) | instskip(SKIP_2) | instid1(VALU_DEP_3)
	v_fma_f64 v[24:25], v[102:103], s[0:1], v[208:209]
	v_fma_f64 v[210:211], v[102:103], s[24:25], v[208:209]
	v_mul_f64 v[208:209], v[118:119], s[8:9]
	v_add_f64 v[24:25], v[24:25], v[18:19]
	v_fma_f64 v[18:19], v[110:111], s[12:13], -v[212:213]
	s_delay_alu instid0(VALU_DEP_4) | instskip(SKIP_2) | instid1(VALU_DEP_4)
	v_add_f64 v[210:211], v[210:211], v[10:11]
	v_fma_f64 v[10:11], v[110:111], s[12:13], v[212:213]
	v_mul_f64 v[212:213], v[122:123], s[12:13]
	v_add_f64 v[18:19], v[18:19], v[16:17]
	v_add_f64 v[16:17], v[34:35], v[24:25]
	v_fma_f64 v[24:25], v[88:89], s[42:43], -v[70:71]
	v_add_f64 v[10:11], v[10:11], v[8:9]
	v_fma_f64 v[8:9], v[106:107], s[20:21], v[214:215]
	v_mul_f64 v[214:215], v[120:121], s[0:1]
	v_mul_f64 v[34:35], v[92:93], s[14:15]
	v_add_f64 v[24:25], v[24:25], v[26:27]
	v_fma_f64 v[26:27], v[82:83], s[50:51], v[204:205]
	v_add_f64 v[8:9], v[8:9], v[210:211]
	v_mul_f64 v[210:211], v[116:117], s[20:21]
	v_add_f64 v[34:35], v[34:35], -v[166:167]
	s_delay_alu instid0(VALU_DEP_4) | instskip(SKIP_1) | instid1(VALU_DEP_3)
	v_add_f64 v[26:27], v[26:27], v[32:33]
	v_fma_f64 v[32:33], v[92:93], s[8:9], -v[206:207]
	v_add_f64 v[28:29], v[34:35], v[28:29]
	v_mul_f64 v[34:35], v[108:109], s[12:13]
	s_delay_alu instid0(VALU_DEP_3) | instskip(SKIP_1) | instid1(VALU_DEP_3)
	v_add_f64 v[24:25], v[32:33], v[24:25]
	v_fma_f64 v[32:33], v[86:87], s[6:7], v[208:209]
	v_add_f64 v[34:35], v[34:35], -v[196:197]
	s_delay_alu instid0(VALU_DEP_2) | instskip(SKIP_1) | instid1(VALU_DEP_1)
	v_add_f64 v[26:27], v[32:33], v[26:27]
	v_fma_f64 v[32:33], v[96:97], s[12:13], -v[210:211]
	v_add_f64 v[24:25], v[32:33], v[24:25]
	v_fma_f64 v[32:33], v[90:91], s[20:21], v[212:213]
	s_delay_alu instid0(VALU_DEP_1) | instskip(SKIP_1) | instid1(VALU_DEP_1)
	v_add_f64 v[26:27], v[32:33], v[26:27]
	v_fma_f64 v[32:33], v[100:101], s[22:23], -v[214:215]
	v_add_f64 v[24:25], v[32:33], v[24:25]
	v_fma_f64 v[32:33], v[94:95], s[0:1], v[216:217]
	s_delay_alu instid0(VALU_DEP_1) | instskip(SKIP_1) | instid1(VALU_DEP_1)
	;; [unrolled: 5-line block ×5, first 2 shown]
	v_add_f64 v[24:25], v[24:25], v[32:33]
	v_mul_f64 v[32:33], v[96:97], s[22:23]
	v_add_f64 v[32:33], v[32:33], -v[176:177]
	s_delay_alu instid0(VALU_DEP_1) | instskip(SKIP_1) | instid1(VALU_DEP_2)
	v_add_f64 v[28:29], v[32:33], v[28:29]
	v_mul_f64 v[32:33], v[134:135], s[12:13]
	v_add_f64 v[28:29], v[58:59], v[28:29]
	s_delay_alu instid0(VALU_DEP_2) | instskip(SKIP_1) | instid1(VALU_DEP_3)
	v_add_f64 v[32:33], v[194:195], v[32:33]
	v_mul_f64 v[58:59], v[114:115], s[14:15]
	v_add_f64 v[28:29], v[154:155], v[28:29]
	s_delay_alu instid0(VALU_DEP_3) | instskip(NEXT) | instid1(VALU_DEP_3)
	v_add_f64 v[32:33], v[32:33], v[30:31]
	v_add_f64 v[58:59], v[146:147], v[58:59]
	v_mul_f64 v[146:147], v[130:131], s[34:35]
	v_mul_f64 v[154:155], v[124:125], s[50:51]
	v_add_f64 v[28:29], v[34:35], v[28:29]
	v_mul_f64 v[34:35], v[96:97], s[26:27]
	s_delay_alu instid0(VALU_DEP_4) | instskip(NEXT) | instid1(VALU_DEP_3)
	v_add_f64 v[146:147], v[170:171], v[146:147]
	v_add_f64 v[30:31], v[44:45], v[28:29]
	v_mul_f64 v[44:45], v[88:89], s[14:15]
	v_add_f64 v[28:29], v[36:37], v[32:33]
	v_mul_f64 v[36:37], v[92:93], s[22:23]
	v_mul_f64 v[32:33], v[100:101], s[8:9]
	v_add_f64 v[34:35], v[34:35], -v[160:161]
	v_mul_f64 v[160:161], v[134:135], s[14:15]
	v_add_f64 v[44:45], v[44:45], -v[148:149]
	;; [unrolled: 2-line block ×3, first 2 shown]
	v_add_f64 v[32:33], v[32:33], -v[168:169]
	v_mul_f64 v[152:153], v[126:127], s[12:13]
	v_add_f64 v[42:43], v[44:45], v[42:43]
	v_add_f64 v[44:45], v[58:59], v[142:143]
	v_mul_f64 v[58:59], v[126:127], s[8:9]
	v_mul_f64 v[142:143], v[118:119], s[26:27]
	s_delay_alu instid0(VALU_DEP_4) | instskip(NEXT) | instid1(VALU_DEP_4)
	v_add_f64 v[36:37], v[36:37], v[42:43]
	v_add_f64 v[42:43], v[48:49], v[44:45]
	s_delay_alu instid0(VALU_DEP_4)
	v_add_f64 v[58:59], v[162:163], v[58:59]
	v_mul_f64 v[44:45], v[108:109], s[18:19]
	v_mul_f64 v[48:49], v[84:85], s[24:25]
	v_mul_f64 v[162:163], v[132:133], s[54:55]
	v_add_f64 v[34:35], v[34:35], v[36:37]
	v_add_f64 v[36:37], v[46:47], v[42:43]
	v_mul_f64 v[42:43], v[134:135], s[18:19]
	v_add_f64 v[44:45], v[44:45], -v[182:183]
	v_mul_f64 v[46:47], v[136:137], s[42:43]
	v_add_f64 v[32:33], v[32:33], v[34:35]
	v_add_f64 v[34:35], v[58:59], v[36:37]
	v_mul_f64 v[36:37], v[110:111], s[42:43]
	v_add_f64 v[42:43], v[178:179], v[42:43]
	v_mul_f64 v[58:59], v[114:115], s[22:23]
	;; [unrolled: 2-line block ×3, first 2 shown]
	v_add_f64 v[32:33], v[60:61], v[32:33]
	v_add_f64 v[34:35], v[146:147], v[34:35]
	v_add_f64 v[36:37], v[36:37], -v[188:189]
	v_mul_f64 v[60:61], v[112:113], s[28:29]
	v_mul_f64 v[146:147], v[116:117], s[30:31]
	v_add_f64 v[32:33], v[44:45], v[32:33]
	v_add_f64 v[42:43], v[42:43], v[34:35]
	v_mul_f64 v[44:45], v[84:85], s[54:55]
	s_delay_alu instid0(VALU_DEP_3) | instskip(SKIP_1) | instid1(VALU_DEP_4)
	v_add_f64 v[34:35], v[36:37], v[32:33]
	v_fma_f64 v[36:37], v[88:89], s[22:23], -v[48:49]
	v_add_f64 v[32:33], v[46:47], v[42:43]
	v_mul_f64 v[46:47], v[114:115], s[8:9]
	v_fma_f64 v[48:49], v[88:89], s[22:23], v[48:49]
	s_delay_alu instid0(VALU_DEP_4) | instskip(SKIP_1) | instid1(VALU_DEP_4)
	v_add_f64 v[36:37], v[36:37], v[38:39]
	v_fma_f64 v[38:39], v[82:83], s[24:25], v[58:59]
	v_fma_f64 v[42:43], v[82:83], s[54:55], v[46:47]
	;; [unrolled: 1-line block ×3, first 2 shown]
	v_add_f64 v[48:49], v[48:49], v[64:65]
	v_mul_f64 v[64:65], v[118:119], s[42:43]
	v_add_f64 v[38:39], v[38:39], v[40:41]
	v_fma_f64 v[40:41], v[92:93], s[26:27], -v[60:61]
	v_add_f64 v[42:43], v[42:43], v[74:75]
	v_add_f64 v[46:47], v[46:47], v[72:73]
	v_mul_f64 v[72:73], v[112:113], s[36:37]
	s_delay_alu instid0(VALU_DEP_4) | instskip(SKIP_1) | instid1(VALU_DEP_1)
	v_add_f64 v[36:37], v[40:41], v[36:37]
	v_fma_f64 v[40:41], v[86:87], s[28:29], v[142:143]
	v_add_f64 v[38:39], v[40:41], v[38:39]
	v_fma_f64 v[40:41], v[96:97], s[34:35], -v[146:147]
	s_delay_alu instid0(VALU_DEP_1) | instskip(SKIP_1) | instid1(VALU_DEP_1)
	v_add_f64 v[36:37], v[40:41], v[36:37]
	v_fma_f64 v[40:41], v[90:91], s[30:31], v[148:149]
	v_add_f64 v[38:39], v[40:41], v[38:39]
	v_fma_f64 v[40:41], v[100:101], s[12:13], -v[150:151]
	s_delay_alu instid0(VALU_DEP_1) | instskip(SKIP_1) | instid1(VALU_DEP_1)
	;; [unrolled: 5-line block ×5, first 2 shown]
	v_add_f64 v[38:39], v[38:39], v[36:37]
	v_fma_f64 v[36:37], v[106:107], s[54:55], v[164:165]
	v_add_f64 v[36:37], v[36:37], v[40:41]
	v_fma_f64 v[40:41], v[88:89], s[8:9], -v[44:45]
	v_fma_f64 v[44:45], v[88:89], s[8:9], v[44:45]
	s_delay_alu instid0(VALU_DEP_2) | instskip(SKIP_1) | instid1(VALU_DEP_3)
	v_add_f64 v[40:41], v[40:41], v[50:51]
	v_mul_f64 v[50:51], v[112:113], s[20:21]
	v_add_f64 v[44:45], v[44:45], v[62:63]
	v_fma_f64 v[62:63], v[106:107], s[24:25], v[186:187]
	v_mul_f64 v[112:113], v[112:113], s[46:47]
	s_delay_alu instid0(VALU_DEP_4) | instskip(SKIP_1) | instid1(VALU_DEP_2)
	v_fma_f64 v[74:75], v[92:93], s[12:13], -v[50:51]
	v_fma_f64 v[50:51], v[92:93], s[12:13], v[50:51]
	v_add_f64 v[40:41], v[74:75], v[40:41]
	v_mul_f64 v[74:75], v[118:119], s[12:13]
	s_delay_alu instid0(VALU_DEP_3) | instskip(SKIP_1) | instid1(VALU_DEP_3)
	v_add_f64 v[44:45], v[50:51], v[44:45]
	v_mul_f64 v[118:119], v[118:119], s[18:19]
	v_fma_f64 v[166:167], v[86:87], s[20:21], v[74:75]
	v_fma_f64 v[50:51], v[86:87], s[52:53], v[74:75]
	v_mul_f64 v[74:75], v[122:123], s[8:9]
	s_delay_alu instid0(VALU_DEP_3) | instskip(SKIP_1) | instid1(VALU_DEP_4)
	v_add_f64 v[42:43], v[166:167], v[42:43]
	v_mul_f64 v[166:167], v[116:117], s[38:39]
	v_add_f64 v[46:47], v[50:51], v[46:47]
	s_delay_alu instid0(VALU_DEP_2) | instskip(SKIP_1) | instid1(VALU_DEP_2)
	v_fma_f64 v[168:169], v[96:97], s[18:19], -v[166:167]
	v_fma_f64 v[50:51], v[96:97], s[18:19], v[166:167]
	v_add_f64 v[40:41], v[168:169], v[40:41]
	v_mul_f64 v[168:169], v[122:123], s[18:19]
	s_delay_alu instid0(VALU_DEP_3) | instskip(SKIP_1) | instid1(VALU_DEP_3)
	v_add_f64 v[44:45], v[50:51], v[44:45]
	v_mul_f64 v[122:123], v[122:123], s[14:15]
	v_fma_f64 v[170:171], v[90:91], s[38:39], v[168:169]
	v_fma_f64 v[50:51], v[90:91], s[46:47], v[168:169]
	s_delay_alu instid0(VALU_DEP_2) | instskip(SKIP_1) | instid1(VALU_DEP_3)
	v_add_f64 v[42:43], v[170:171], v[42:43]
	v_mul_f64 v[170:171], v[120:121], s[28:29]
	v_add_f64 v[46:47], v[50:51], v[46:47]
	s_delay_alu instid0(VALU_DEP_2) | instskip(SKIP_1) | instid1(VALU_DEP_2)
	v_fma_f64 v[172:173], v[100:101], s[26:27], -v[170:171]
	v_fma_f64 v[50:51], v[100:101], s[26:27], v[170:171]
	v_add_f64 v[40:41], v[172:173], v[40:41]
	v_mul_f64 v[172:173], v[126:127], s[26:27]
	s_delay_alu instid0(VALU_DEP_3) | instskip(NEXT) | instid1(VALU_DEP_2)
	v_add_f64 v[44:45], v[50:51], v[44:45]
	v_fma_f64 v[174:175], v[94:95], s[28:29], v[172:173]
	v_fma_f64 v[50:51], v[94:95], s[40:41], v[172:173]
	s_delay_alu instid0(VALU_DEP_2) | instskip(SKIP_1) | instid1(VALU_DEP_3)
	v_add_f64 v[42:43], v[174:175], v[42:43]
	v_mul_f64 v[174:175], v[124:125], s[44:45]
	v_add_f64 v[46:47], v[50:51], v[46:47]
	s_delay_alu instid0(VALU_DEP_2) | instskip(SKIP_1) | instid1(VALU_DEP_2)
	v_fma_f64 v[176:177], v[104:105], s[14:15], -v[174:175]
	v_fma_f64 v[50:51], v[104:105], s[14:15], v[174:175]
	v_add_f64 v[40:41], v[176:177], v[40:41]
	v_mul_f64 v[176:177], v[130:131], s[14:15]
	s_delay_alu instid0(VALU_DEP_3) | instskip(NEXT) | instid1(VALU_DEP_2)
	v_add_f64 v[44:45], v[50:51], v[44:45]
	;; [unrolled: 13-line block ×3, first 2 shown]
	v_fma_f64 v[50:51], v[102:103], s[50:51], v[180:181]
	v_fma_f64 v[182:183], v[102:103], s[36:37], v[180:181]
	s_delay_alu instid0(VALU_DEP_2) | instskip(SKIP_1) | instid1(VALU_DEP_3)
	v_add_f64 v[50:51], v[50:51], v[46:47]
	v_fma_f64 v[46:47], v[110:111], s[22:23], v[184:185]
	v_add_f64 v[182:183], v[182:183], v[42:43]
	v_fma_f64 v[42:43], v[110:111], s[22:23], -v[184:185]
	s_delay_alu instid0(VALU_DEP_3)
	v_add_f64 v[46:47], v[46:47], v[44:45]
	v_add_f64 v[44:45], v[62:63], v[50:51]
	v_fma_f64 v[50:51], v[82:83], s[0:1], v[58:59]
	v_fma_f64 v[58:59], v[92:93], s[26:27], v[60:61]
	v_fma_f64 v[60:61], v[106:107], s[6:7], v[164:165]
	v_mul_f64 v[62:63], v[84:85], s[48:49]
	v_mul_f64 v[84:85], v[84:85], s[20:21]
	v_add_f64 v[42:43], v[42:43], v[40:41]
	v_fma_f64 v[40:41], v[106:107], s[0:1], v[186:187]
	v_add_f64 v[50:51], v[50:51], v[138:139]
	v_add_f64 v[48:49], v[58:59], v[48:49]
	v_fma_f64 v[58:59], v[86:87], s[40:41], v[142:143]
	v_mul_f64 v[138:139], v[116:117], s[6:7]
	v_mul_f64 v[142:143], v[126:127], s[14:15]
	;; [unrolled: 1-line block ×4, first 2 shown]
	v_add_f64 v[40:41], v[40:41], v[182:183]
	v_add_f64 v[50:51], v[58:59], v[50:51]
	v_fma_f64 v[58:59], v[96:97], s[34:35], v[146:147]
	v_mul_f64 v[146:147], v[120:121], s[44:45]
	v_mul_f64 v[120:121], v[120:121], s[48:49]
	s_delay_alu instid0(VALU_DEP_3) | instskip(SKIP_3) | instid1(VALU_DEP_3)
	v_add_f64 v[48:49], v[58:59], v[48:49]
	v_fma_f64 v[58:59], v[90:91], s[48:49], v[148:149]
	v_mul_f64 v[148:149], v[130:131], s[12:13]
	v_mul_f64 v[130:131], v[130:131], s[22:23]
	v_add_f64 v[50:51], v[58:59], v[50:51]
	v_fma_f64 v[58:59], v[100:101], s[12:13], v[150:151]
	v_mul_f64 v[150:151], v[124:125], s[52:53]
	v_mul_f64 v[124:125], v[124:125], s[24:25]
	s_delay_alu instid0(VALU_DEP_3) | instskip(SKIP_3) | instid1(VALU_DEP_3)
	v_add_f64 v[48:49], v[58:59], v[48:49]
	v_fma_f64 v[58:59], v[94:95], s[20:21], v[152:153]
	v_mul_f64 v[152:153], v[134:135], s[26:27]
	v_mul_f64 v[134:135], v[134:135], s[8:9]
	;; [unrolled: 9-line block ×3, first 2 shown]
	v_add_f64 v[50:51], v[58:59], v[50:51]
	v_fma_f64 v[58:59], v[108:109], s[14:15], v[158:159]
	v_mul_f64 v[158:159], v[132:133], s[46:47]
	v_mul_f64 v[132:133], v[132:133], s[40:41]
	s_delay_alu instid0(VALU_DEP_3) | instskip(SKIP_1) | instid1(VALU_DEP_1)
	v_add_f64 v[48:49], v[58:59], v[48:49]
	v_fma_f64 v[58:59], v[102:103], s[16:17], v[160:161]
	v_add_f64 v[58:59], v[58:59], v[50:51]
	v_fma_f64 v[50:51], v[110:111], s[8:9], v[162:163]
	s_delay_alu instid0(VALU_DEP_1) | instskip(NEXT) | instid1(VALU_DEP_3)
	v_add_f64 v[50:51], v[50:51], v[48:49]
	v_add_f64 v[48:49], v[60:61], v[58:59]
	v_mul_f64 v[60:61], v[114:115], s[34:35]
	v_mul_f64 v[114:115], v[114:115], s[12:13]
	s_delay_alu instid0(VALU_DEP_2) | instskip(SKIP_1) | instid1(VALU_DEP_2)
	v_fma_f64 v[58:59], v[82:83], s[48:49], v[60:61]
	v_fma_f64 v[60:61], v[82:83], s[30:31], v[60:61]
	v_add_f64 v[52:53], v[58:59], v[52:53]
	v_fma_f64 v[58:59], v[88:89], s[34:35], -v[62:63]
	s_delay_alu instid0(VALU_DEP_3) | instskip(SKIP_1) | instid1(VALU_DEP_3)
	v_add_f64 v[60:61], v[60:61], v[140:141]
	v_fma_f64 v[62:63], v[88:89], s[34:35], v[62:63]
	v_add_f64 v[54:55], v[58:59], v[54:55]
	v_fma_f64 v[58:59], v[86:87], s[36:37], v[64:65]
	v_fma_f64 v[64:65], v[86:87], s[50:51], v[64:65]
	s_delay_alu instid0(VALU_DEP_4) | instskip(SKIP_1) | instid1(VALU_DEP_4)
	v_add_f64 v[62:63], v[62:63], v[68:69]
	v_fma_f64 v[68:69], v[110:111], s[18:19], v[158:159]
	v_add_f64 v[52:53], v[58:59], v[52:53]
	v_fma_f64 v[58:59], v[92:93], s[42:43], -v[72:73]
	v_add_f64 v[60:61], v[64:65], v[60:61]
	v_fma_f64 v[64:65], v[92:93], s[42:43], v[72:73]
	s_delay_alu instid0(VALU_DEP_3) | instskip(SKIP_1) | instid1(VALU_DEP_3)
	v_add_f64 v[54:55], v[58:59], v[54:55]
	v_fma_f64 v[58:59], v[90:91], s[6:7], v[74:75]
	v_add_f64 v[62:63], v[64:65], v[62:63]
	v_fma_f64 v[64:65], v[90:91], s[54:55], v[74:75]
	s_delay_alu instid0(VALU_DEP_3) | instskip(SKIP_1) | instid1(VALU_DEP_3)
	v_add_f64 v[52:53], v[58:59], v[52:53]
	v_fma_f64 v[58:59], v[96:97], s[8:9], -v[138:139]
	v_add_f64 v[60:61], v[64:65], v[60:61]
	v_fma_f64 v[64:65], v[96:97], s[8:9], v[138:139]
	s_delay_alu instid0(VALU_DEP_3) | instskip(SKIP_1) | instid1(VALU_DEP_3)
	v_add_f64 v[54:55], v[58:59], v[54:55]
	v_fma_f64 v[58:59], v[94:95], s[44:45], v[142:143]
	v_add_f64 v[62:63], v[64:65], v[62:63]
	v_fma_f64 v[64:65], v[94:95], s[16:17], v[142:143]
	s_delay_alu instid0(VALU_DEP_3) | instskip(SKIP_1) | instid1(VALU_DEP_3)
	v_add_f64 v[52:53], v[58:59], v[52:53]
	v_fma_f64 v[58:59], v[100:101], s[14:15], -v[146:147]
	v_add_f64 v[60:61], v[64:65], v[60:61]
	v_fma_f64 v[64:65], v[100:101], s[14:15], v[146:147]
	s_delay_alu instid0(VALU_DEP_3) | instskip(SKIP_1) | instid1(VALU_DEP_3)
	v_add_f64 v[54:55], v[58:59], v[54:55]
	v_fma_f64 v[58:59], v[98:99], s[52:53], v[148:149]
	v_add_f64 v[62:63], v[64:65], v[62:63]
	v_fma_f64 v[64:65], v[98:99], s[20:21], v[148:149]
	s_delay_alu instid0(VALU_DEP_3) | instskip(SKIP_1) | instid1(VALU_DEP_3)
	v_add_f64 v[52:53], v[58:59], v[52:53]
	v_fma_f64 v[58:59], v[104:105], s[12:13], -v[150:151]
	v_add_f64 v[60:61], v[64:65], v[60:61]
	v_fma_f64 v[64:65], v[104:105], s[12:13], v[150:151]
	s_delay_alu instid0(VALU_DEP_3) | instskip(SKIP_1) | instid1(VALU_DEP_3)
	v_add_f64 v[54:55], v[58:59], v[54:55]
	v_fma_f64 v[58:59], v[102:103], s[28:29], v[152:153]
	v_add_f64 v[62:63], v[64:65], v[62:63]
	v_fma_f64 v[64:65], v[102:103], s[40:41], v[152:153]
	s_delay_alu instid0(VALU_DEP_3) | instskip(SKIP_1) | instid1(VALU_DEP_3)
	v_add_f64 v[52:53], v[58:59], v[52:53]
	v_fma_f64 v[58:59], v[108:109], s[26:27], -v[154:155]
	v_add_f64 v[60:61], v[64:65], v[60:61]
	v_fma_f64 v[64:65], v[108:109], s[26:27], v[154:155]
	s_delay_alu instid0(VALU_DEP_3) | instskip(SKIP_1) | instid1(VALU_DEP_3)
	v_add_f64 v[54:55], v[58:59], v[54:55]
	v_fma_f64 v[58:59], v[106:107], s[46:47], v[156:157]
	v_add_f64 v[62:63], v[64:65], v[62:63]
	v_fma_f64 v[64:65], v[106:107], s[38:39], v[156:157]
	s_delay_alu instid0(VALU_DEP_3) | instskip(SKIP_1) | instid1(VALU_DEP_3)
	v_add_f64 v[52:53], v[58:59], v[52:53]
	v_fma_f64 v[58:59], v[110:111], s[18:19], -v[158:159]
	v_add_f64 v[60:61], v[64:65], v[60:61]
	v_fma_f64 v[64:65], v[88:89], s[42:43], v[70:71]
	v_add_f64 v[62:63], v[68:69], v[62:63]
	v_fma_f64 v[68:69], v[92:93], s[8:9], v[206:207]
	v_fma_f64 v[70:71], v[106:107], s[16:17], v[228:229]
	v_add_f64 v[54:55], v[58:59], v[54:55]
	v_fma_f64 v[58:59], v[82:83], s[20:21], v[114:115]
	v_add_f64 v[64:65], v[64:65], v[66:67]
	v_fma_f64 v[66:67], v[82:83], s[36:37], v[204:205]
	s_delay_alu instid0(VALU_DEP_3) | instskip(SKIP_1) | instid1(VALU_DEP_3)
	v_add_f64 v[58:59], v[58:59], v[144:145]
	v_fma_f64 v[144:145], v[88:89], s[12:13], -v[84:85]
	v_add_f64 v[66:67], v[66:67], v[202:203]
	v_add_f64 v[64:65], v[68:69], v[64:65]
	v_fma_f64 v[68:69], v[86:87], s[54:55], v[208:209]
	s_delay_alu instid0(VALU_DEP_4) | instskip(SKIP_1) | instid1(VALU_DEP_3)
	v_add_f64 v[56:57], v[144:145], v[56:57]
	v_fma_f64 v[144:145], v[86:87], s[46:47], v[118:119]
	v_add_f64 v[66:67], v[68:69], v[66:67]
	v_fma_f64 v[68:69], v[96:97], s[12:13], v[210:211]
	s_delay_alu instid0(VALU_DEP_3) | instskip(SKIP_1) | instid1(VALU_DEP_3)
	v_add_f64 v[58:59], v[144:145], v[58:59]
	v_fma_f64 v[144:145], v[92:93], s[18:19], -v[112:113]
	v_add_f64 v[64:65], v[68:69], v[64:65]
	v_fma_f64 v[68:69], v[90:91], s[52:53], v[212:213]
	s_delay_alu instid0(VALU_DEP_3) | instskip(SKIP_1) | instid1(VALU_DEP_3)
	v_add_f64 v[56:57], v[144:145], v[56:57]
	v_fma_f64 v[144:145], v[90:91], s[44:45], v[122:123]
	v_add_f64 v[66:67], v[68:69], v[66:67]
	v_fma_f64 v[68:69], v[100:101], s[22:23], v[214:215]
	s_delay_alu instid0(VALU_DEP_3) | instskip(SKIP_1) | instid1(VALU_DEP_3)
	v_add_f64 v[58:59], v[144:145], v[58:59]
	v_fma_f64 v[144:145], v[96:97], s[14:15], -v[116:117]
	v_add_f64 v[64:65], v[68:69], v[64:65]
	v_fma_f64 v[68:69], v[94:95], s[24:25], v[216:217]
	s_delay_alu instid0(VALU_DEP_3) | instskip(SKIP_1) | instid1(VALU_DEP_3)
	;; [unrolled: 10-line block ×4, first 2 shown]
	v_add_f64 v[56:57], v[144:145], v[56:57]
	v_fma_f64 v[144:145], v[102:103], s[54:55], v[134:135]
	v_add_f64 v[68:69], v[68:69], v[66:67]
	v_fma_f64 v[66:67], v[110:111], s[14:15], v[226:227]
	s_delay_alu instid0(VALU_DEP_3) | instskip(SKIP_1) | instid1(VALU_DEP_3)
	v_add_f64 v[58:59], v[144:145], v[58:59]
	v_fma_f64 v[144:145], v[108:109], s[8:9], -v[128:129]
	v_add_f64 v[66:67], v[66:67], v[64:65]
	v_add_f64 v[64:65], v[70:71], v[68:69]
	v_fma_f64 v[68:69], v[82:83], s[52:53], v[114:115]
	v_fma_f64 v[70:71], v[88:89], s[12:13], v[84:85]
	v_add_f64 v[144:145], v[144:145], v[56:57]
	v_fma_f64 v[56:57], v[106:107], s[40:41], v[136:137]
	s_delay_alu instid0(VALU_DEP_4) | instskip(NEXT) | instid1(VALU_DEP_4)
	v_add_f64 v[20:21], v[68:69], v[20:21]
	v_add_f64 v[22:23], v[70:71], v[22:23]
	v_fma_f64 v[68:69], v[86:87], s[38:39], v[118:119]
	v_fma_f64 v[70:71], v[92:93], s[18:19], v[112:113]
	v_add_f64 v[56:57], v[56:57], v[58:59]
	v_fma_f64 v[58:59], v[110:111], s[26:27], -v[132:133]
	s_delay_alu instid0(VALU_DEP_4) | instskip(NEXT) | instid1(VALU_DEP_4)
	v_add_f64 v[20:21], v[68:69], v[20:21]
	v_add_f64 v[22:23], v[70:71], v[22:23]
	v_fma_f64 v[68:69], v[96:97], s[14:15], v[116:117]
	v_fma_f64 v[70:71], v[90:91], s[16:17], v[122:123]
	v_add_f64 v[58:59], v[58:59], v[144:145]
	ds_store_b128 v0, v[12:15]
	ds_store_b128 v0, v[24:27] offset:16
	ds_store_b128 v0, v[56:59] offset:32
	;; [unrolled: 1-line block ×13, first 2 shown]
	scratch_load_b128 v[8:11], off, off     ; 16-byte Folded Reload
	v_add_f64 v[22:23], v[68:69], v[22:23]
	v_add_f64 v[20:21], v[70:71], v[20:21]
	v_fma_f64 v[68:69], v[100:101], s[34:35], v[120:121]
	v_fma_f64 v[70:71], v[94:95], s[30:31], v[126:127]
	s_delay_alu instid0(VALU_DEP_2) | instskip(NEXT) | instid1(VALU_DEP_2)
	v_add_f64 v[22:23], v[68:69], v[22:23]
	v_add_f64 v[20:21], v[70:71], v[20:21]
	v_fma_f64 v[68:69], v[104:105], s[22:23], v[124:125]
	v_fma_f64 v[70:71], v[98:99], s[0:1], v[130:131]
	s_delay_alu instid0(VALU_DEP_2) | instskip(NEXT) | instid1(VALU_DEP_2)
	;; [unrolled: 5-line block ×4, first 2 shown]
	v_add_f64 v[22:23], v[68:69], v[22:23]
	v_add_f64 v[20:21], v[70:71], v[20:21]
	s_waitcnt vmcnt(0)
	ds_store_b128 v0, v[8:11] offset:208
	ds_store_b128 v0, v[20:23] offset:240
	;; [unrolled: 1-line block ×3, first 2 shown]
.LBB0_13:
	s_or_b32 exec_lo, exec_lo, s33
	v_and_b32_e32 v0, 0xff, v78
	s_load_b64 s[2:3], s[2:3], 0x0
	s_waitcnt lgkmcnt(0)
	s_waitcnt_vscnt null, 0x0
	s_barrier
	buffer_gl0_inv
	v_mul_lo_u16 v0, 0xf1, v0
	v_lshl_add_u32 v95, v78, 4, 0
	s_mov_b32 s26, 0x42a4c3d2
	s_mov_b32 s27, 0xbfea55e2
	;; [unrolled: 1-line block ×3, first 2 shown]
	v_lshrrev_b16 v79, 12, v0
	s_mov_b32 s12, 0x1ea71119
	s_mov_b32 s40, 0x66966769
	;; [unrolled: 1-line block ×4, first 2 shown]
	v_mul_lo_u16 v0, v79, 17
	s_mov_b32 s22, 0x4bc48dbf
	s_mov_b32 s43, 0xbfddbe06
	;; [unrolled: 1-line block ×4, first 2 shown]
	v_sub_nc_u16 v0, v78, v0
	s_mov_b32 s21, 0xbfedeba7
	s_mov_b32 s35, 0xbfe5384d
	;; [unrolled: 1-line block ×4, first 2 shown]
	v_and_b32_e32 v94, 0xff, v0
	s_mov_b32 s14, 0xebaa3ed8
	s_mov_b32 s8, 0xb2365da1
	;; [unrolled: 1-line block ×4, first 2 shown]
	v_mul_u32_u24_e32 v0, 12, v94
	s_mov_b32 s17, 0x3fec55a7
	s_mov_b32 s15, 0x3fbedb7d
	;; [unrolled: 1-line block ×4, first 2 shown]
	v_lshlrev_b32_e32 v42, 4, v0
	s_mov_b32 s1, 0xbfef11f4
	s_mov_b32 s39, 0x3fddbe06
	;; [unrolled: 1-line block ×4, first 2 shown]
	s_clause 0x3
	global_load_b128 v[8:11], v42, s[4:5]
	global_load_b128 v[12:15], v42, s[4:5] offset:16
	global_load_b128 v[16:19], v42, s[4:5] offset:176
	;; [unrolled: 1-line block ×3, first 2 shown]
	ds_load_b128 v[24:27], v95 offset:816
	ds_load_b128 v[68:71], v95
	ds_load_b128 v[28:31], v95 offset:1632
	ds_load_b128 v[32:35], v95 offset:2448
	s_mov_b32 s29, 0x3fedeba7
	s_mov_b32 s25, 0x3fe5384d
	s_mov_b32 s19, 0x3fcea1e5
	s_mov_b32 s38, s42
	s_mov_b32 s36, s26
	s_mov_b32 s30, s40
	s_mov_b32 s28, s20
	s_mov_b32 s24, s34
	s_mov_b32 s18, s22
	s_waitcnt vmcnt(3) lgkmcnt(3)
	v_mul_f64 v[36:37], v[26:27], v[10:11]
	v_mul_f64 v[10:11], v[24:25], v[10:11]
	s_waitcnt vmcnt(2) lgkmcnt(1)
	v_mul_f64 v[38:39], v[28:29], v[14:15]
	v_mul_f64 v[14:15], v[30:31], v[14:15]
	s_delay_alu instid0(VALU_DEP_4) | instskip(NEXT) | instid1(VALU_DEP_4)
	v_fma_f64 v[72:73], v[24:25], v[8:9], v[36:37]
	v_fma_f64 v[74:75], v[26:27], v[8:9], -v[10:11]
	ds_load_b128 v[8:11], v95 offset:9792
	v_fma_f64 v[26:27], v[28:29], v[12:13], v[14:15]
	v_fma_f64 v[24:25], v[30:31], v[12:13], -v[38:39]
	ds_load_b128 v[28:31], v95 offset:8976
	s_waitcnt vmcnt(1) lgkmcnt(1)
	v_mul_f64 v[36:37], v[8:9], v[18:19]
	v_mul_f64 v[14:15], v[10:11], v[18:19]
	s_delay_alu instid0(VALU_DEP_2) | instskip(NEXT) | instid1(VALU_DEP_2)
	v_fma_f64 v[12:13], v[10:11], v[16:17], -v[36:37]
	v_fma_f64 v[14:15], v[8:9], v[16:17], v[14:15]
	ds_load_b128 v[8:11], v95 offset:8160
	s_waitcnt vmcnt(0) lgkmcnt(1)
	v_mul_f64 v[16:17], v[28:29], v[22:23]
	v_mul_f64 v[18:19], v[30:31], v[22:23]
	v_add_f64 v[104:105], v[72:73], -v[14:15]
	s_delay_alu instid0(VALU_DEP_3) | instskip(NEXT) | instid1(VALU_DEP_3)
	v_fma_f64 v[16:17], v[30:31], v[20:21], -v[16:17]
	v_fma_f64 v[18:19], v[28:29], v[20:21], v[18:19]
	s_clause 0x1
	global_load_b128 v[20:23], v42, s[4:5] offset:32
	global_load_b128 v[38:41], v42, s[4:5] offset:48
	v_add_f64 v[136:137], v[24:25], -v[16:17]
	v_add_f64 v[138:139], v[24:25], v[16:17]
	s_delay_alu instid0(VALU_DEP_2) | instskip(SKIP_1) | instid1(VALU_DEP_3)
	v_mul_f64 v[184:185], v[136:137], s[20:21]
	v_mul_f64 v[202:203], v[136:137], s[22:23]
	;; [unrolled: 1-line block ×7, first 2 shown]
	s_waitcnt vmcnt(1)
	v_mul_f64 v[28:29], v[34:35], v[22:23]
	v_mul_f64 v[22:23], v[32:33], v[22:23]
	s_delay_alu instid0(VALU_DEP_2) | instskip(NEXT) | instid1(VALU_DEP_2)
	v_fma_f64 v[28:29], v[32:33], v[20:21], v[28:29]
	v_fma_f64 v[30:31], v[34:35], v[20:21], -v[22:23]
	s_clause 0x1
	global_load_b128 v[32:35], v42, s[4:5] offset:144
	global_load_b128 v[43:46], v42, s[4:5] offset:128
	s_waitcnt vmcnt(1) lgkmcnt(0)
	v_mul_f64 v[20:21], v[10:11], v[34:35]
	s_delay_alu instid0(VALU_DEP_1) | instskip(SKIP_1) | instid1(VALU_DEP_2)
	v_fma_f64 v[20:21], v[8:9], v[32:33], v[20:21]
	v_mul_f64 v[8:9], v[8:9], v[34:35]
	v_add_f64 v[144:145], v[28:29], -v[20:21]
	s_delay_alu instid0(VALU_DEP_2)
	v_fma_f64 v[22:23], v[10:11], v[32:33], -v[8:9]
	ds_load_b128 v[8:11], v95 offset:3264
	ds_load_b128 v[47:50], v95 offset:4080
	s_waitcnt lgkmcnt(1)
	v_mul_f64 v[32:33], v[10:11], v[40:41]
	v_add_f64 v[140:141], v[30:31], -v[22:23]
	v_add_f64 v[142:143], v[30:31], v[22:23]
	s_delay_alu instid0(VALU_DEP_3) | instskip(SKIP_1) | instid1(VALU_DEP_4)
	v_fma_f64 v[36:37], v[8:9], v[38:39], v[32:33]
	v_mul_f64 v[8:9], v[8:9], v[40:41]
	v_mul_f64 v[186:187], v[140:141], s[22:23]
	s_delay_alu instid0(VALU_DEP_4)
	v_mul_f64 v[146:147], v[142:143], s[14:15]
	v_mul_f64 v[188:189], v[142:143], s[0:1]
	;; [unrolled: 1-line block ×7, first 2 shown]
	v_fma_f64 v[38:39], v[10:11], v[38:39], -v[8:9]
	ds_load_b128 v[8:11], v95 offset:7344
	ds_load_b128 v[51:54], v95 offset:6528
	s_waitcnt vmcnt(0) lgkmcnt(1)
	v_mul_f64 v[32:33], v[10:11], v[45:46]
	s_delay_alu instid0(VALU_DEP_1) | instskip(SKIP_1) | instid1(VALU_DEP_2)
	v_fma_f64 v[32:33], v[8:9], v[43:44], v[32:33]
	v_mul_f64 v[8:9], v[8:9], v[45:46]
	v_add_f64 v[150:151], v[36:37], v[32:33]
	s_delay_alu instid0(VALU_DEP_2)
	v_fma_f64 v[34:35], v[10:11], v[43:44], -v[8:9]
	s_clause 0x1
	global_load_b128 v[8:11], v42, s[4:5] offset:64
	global_load_b128 v[55:58], v42, s[4:5] offset:80
	v_add_f64 v[156:157], v[36:37], -v[32:33]
	v_add_f64 v[148:149], v[38:39], -v[34:35]
	v_add_f64 v[154:155], v[38:39], v[34:35]
	s_delay_alu instid0(VALU_DEP_2) | instskip(NEXT) | instid1(VALU_DEP_2)
	v_mul_f64 v[152:153], v[148:149], s[20:21]
	v_mul_f64 v[158:159], v[154:155], s[8:9]
	;; [unrolled: 1-line block ×10, first 2 shown]
	s_waitcnt vmcnt(1)
	v_mul_f64 v[40:41], v[49:50], v[10:11]
	v_mul_f64 v[10:11], v[47:48], v[10:11]
	s_delay_alu instid0(VALU_DEP_2) | instskip(NEXT) | instid1(VALU_DEP_2)
	v_fma_f64 v[40:41], v[47:48], v[8:9], v[40:41]
	v_fma_f64 v[44:45], v[49:50], v[8:9], -v[10:11]
	s_clause 0x1
	global_load_b128 v[8:11], v42, s[4:5] offset:112
	global_load_b128 v[59:62], v42, s[4:5] offset:96
	s_waitcnt vmcnt(1) lgkmcnt(0)
	v_mul_f64 v[42:43], v[53:54], v[10:11]
	v_mul_f64 v[10:11], v[51:52], v[10:11]
	s_delay_alu instid0(VALU_DEP_2) | instskip(NEXT) | instid1(VALU_DEP_2)
	v_fma_f64 v[42:43], v[51:52], v[8:9], v[42:43]
	v_fma_f64 v[46:47], v[53:54], v[8:9], -v[10:11]
	ds_load_b128 v[8:11], v95 offset:4896
	ds_load_b128 v[63:66], v95 offset:5712
	s_waitcnt vmcnt(0) lgkmcnt(0)
	s_barrier
	buffer_gl0_inv
	v_mul_f64 v[48:49], v[10:11], v[57:58]
	v_add_f64 v[162:163], v[40:41], v[42:43]
	v_add_f64 v[160:161], v[44:45], -v[46:47]
	v_add_f64 v[166:167], v[44:45], v[46:47]
	v_add_f64 v[168:169], v[40:41], -v[42:43]
	v_fma_f64 v[48:49], v[8:9], v[55:56], v[48:49]
	v_mul_f64 v[8:9], v[8:9], v[57:58]
	v_mul_f64 v[164:165], v[160:161], s[34:35]
	;; [unrolled: 1-line block ×11, first 2 shown]
	v_fma_f64 v[50:51], v[10:11], v[55:56], -v[8:9]
	v_mul_f64 v[8:9], v[65:66], v[61:62]
	s_delay_alu instid0(VALU_DEP_1) | instskip(SKIP_1) | instid1(VALU_DEP_2)
	v_fma_f64 v[52:53], v[63:64], v[59:60], v[8:9]
	v_mul_f64 v[8:9], v[63:64], v[61:62]
	v_add_f64 v[174:175], v[48:49], v[52:53]
	s_delay_alu instid0(VALU_DEP_2) | instskip(SKIP_3) | instid1(VALU_DEP_4)
	v_fma_f64 v[54:55], v[65:66], v[59:60], -v[8:9]
	v_add_f64 v[8:9], v[74:75], -v[12:13]
	v_add_f64 v[64:65], v[72:73], v[14:15]
	v_add_f64 v[180:181], v[48:49], -v[52:53]
	v_add_f64 v[172:173], v[50:51], -v[54:55]
	s_delay_alu instid0(VALU_DEP_4)
	v_mul_f64 v[56:57], v[8:9], s[26:27]
	v_mul_f64 v[10:11], v[8:9], s[42:43]
	;; [unrolled: 1-line block ×6, first 2 shown]
	v_add_f64 v[178:179], v[50:51], v[54:55]
	v_mul_f64 v[176:177], v[172:173], s[22:23]
	v_fma_f64 v[82:83], v[64:65], s[12:13], v[56:57]
	v_fma_f64 v[84:85], v[64:65], s[12:13], -v[56:57]
	v_add_f64 v[56:57], v[74:75], v[12:13]
	v_fma_f64 v[66:67], v[64:65], s[16:17], v[10:11]
	v_fma_f64 v[10:11], v[64:65], s[16:17], -v[10:11]
	v_fma_f64 v[86:87], v[64:65], s[14:15], v[58:59]
	v_fma_f64 v[88:89], v[64:65], s[14:15], -v[58:59]
	v_fma_f64 v[90:91], v[64:65], s[8:9], v[60:61]
	v_fma_f64 v[92:93], v[64:65], s[8:9], -v[60:61]
	v_fma_f64 v[96:97], v[64:65], s[6:7], v[62:63]
	v_fma_f64 v[98:99], v[64:65], s[6:7], -v[62:63]
	v_fma_f64 v[100:101], v[64:65], s[0:1], v[8:9]
	v_fma_f64 v[8:9], v[64:65], s[0:1], -v[8:9]
	v_mul_f64 v[182:183], v[178:179], s[0:1]
	v_mul_f64 v[198:199], v[172:173], s[38:39]
	;; [unrolled: 1-line block ×8, first 2 shown]
	v_add_f64 v[126:127], v[68:69], v[82:83]
	v_add_f64 v[82:83], v[28:29], v[20:21]
	v_mul_f64 v[58:59], v[56:57], s[16:17]
	v_mul_f64 v[60:61], v[56:57], s[12:13]
	;; [unrolled: 1-line block ×6, first 2 shown]
	v_add_f64 v[10:11], v[68:69], v[10:11]
	v_add_f64 v[88:89], v[68:69], v[88:89]
	;; [unrolled: 1-line block ×5, first 2 shown]
	v_fma_f64 v[2:3], v[174:175], s[8:9], v[0:1]
	v_fma_f64 v[0:1], v[174:175], s[8:9], -v[0:1]
	v_fma_f64 v[100:101], v[82:83], s[0:1], v[186:187]
	v_fma_f64 v[106:107], v[104:105], s[42:43], v[58:59]
	;; [unrolled: 1-line block ×13, first 2 shown]
	v_add_f64 v[56:57], v[68:69], v[72:73]
	v_add_f64 v[58:59], v[70:71], v[74:75]
	;; [unrolled: 1-line block ×4, first 2 shown]
	v_add_f64 v[72:73], v[26:27], -v[18:19]
	v_mul_f64 v[74:75], v[138:139], s[12:13]
	v_mul_f64 v[84:85], v[140:141], s[40:41]
	v_add_f64 v[106:107], v[70:71], v[106:107]
	v_add_f64 v[62:63], v[70:71], v[108:109]
	;; [unrolled: 1-line block ×17, first 2 shown]
	v_mul_f64 v[70:71], v[136:137], s[26:27]
	v_fma_f64 v[96:97], v[82:83], s[14:15], -v[84:85]
	v_fma_f64 v[102:103], v[72:73], s[18:19], v[204:205]
	v_fma_f64 v[104:105], v[82:83], s[8:9], v[206:207]
	s_delay_alu instid0(VALU_DEP_4) | instskip(NEXT) | instid1(VALU_DEP_3)
	v_fma_f64 v[8:9], v[68:69], s[12:13], -v[70:71]
	v_add_f64 v[102:103], v[102:103], v[112:113]
	s_delay_alu instid0(VALU_DEP_2) | instskip(SKIP_1) | instid1(VALU_DEP_2)
	v_add_f64 v[8:9], v[8:9], v[10:11]
	v_fma_f64 v[10:11], v[72:73], s[26:27], v[74:75]
	v_add_f64 v[8:9], v[96:97], v[8:9]
	s_delay_alu instid0(VALU_DEP_2) | instskip(SKIP_2) | instid1(VALU_DEP_2)
	v_add_f64 v[10:11], v[10:11], v[106:107]
	v_fma_f64 v[96:97], v[144:145], s[40:41], v[146:147]
	v_fma_f64 v[106:107], v[72:73], s[34:35], v[224:225]
	v_add_f64 v[10:11], v[96:97], v[10:11]
	v_fma_f64 v[96:97], v[150:151], s[8:9], -v[152:153]
	s_delay_alu instid0(VALU_DEP_3) | instskip(SKIP_1) | instid1(VALU_DEP_3)
	v_add_f64 v[106:107], v[106:107], v[116:117]
	v_mul_f64 v[116:117], v[136:137], s[38:39]
	v_add_f64 v[8:9], v[96:97], v[8:9]
	v_fma_f64 v[96:97], v[156:157], s[20:21], v[158:159]
	s_delay_alu instid0(VALU_DEP_1) | instskip(SKIP_1) | instid1(VALU_DEP_1)
	v_add_f64 v[10:11], v[96:97], v[10:11]
	v_fma_f64 v[96:97], v[162:163], s[6:7], -v[164:165]
	v_add_f64 v[8:9], v[96:97], v[8:9]
	v_fma_f64 v[96:97], v[168:169], s[34:35], v[170:171]
	s_delay_alu instid0(VALU_DEP_1) | instskip(SKIP_1) | instid1(VALU_DEP_1)
	v_add_f64 v[10:11], v[96:97], v[10:11]
	v_fma_f64 v[96:97], v[174:175], s[0:1], -v[176:177]
	v_add_f64 v[8:9], v[96:97], v[8:9]
	v_fma_f64 v[96:97], v[180:181], s[22:23], v[182:183]
	s_delay_alu instid0(VALU_DEP_1) | instskip(SKIP_1) | instid1(VALU_DEP_1)
	v_add_f64 v[10:11], v[96:97], v[10:11]
	v_fma_f64 v[96:97], v[68:69], s[8:9], v[184:185]
	v_add_f64 v[96:97], v[96:97], v[126:127]
	v_mul_f64 v[126:127], v[138:139], s[8:9]
	s_delay_alu instid0(VALU_DEP_2) | instskip(NEXT) | instid1(VALU_DEP_2)
	v_add_f64 v[96:97], v[100:101], v[96:97]
	v_fma_f64 v[98:99], v[72:73], s[28:29], v[126:127]
	v_fma_f64 v[100:101], v[144:145], s[18:19], v[188:189]
	s_delay_alu instid0(VALU_DEP_2) | instskip(SKIP_1) | instid1(VALU_DEP_2)
	v_add_f64 v[98:99], v[98:99], v[110:111]
	v_fma_f64 v[110:111], v[72:73], s[40:41], v[244:245]
	v_add_f64 v[98:99], v[100:101], v[98:99]
	v_fma_f64 v[100:101], v[150:151], s[6:7], v[190:191]
	s_delay_alu instid0(VALU_DEP_3) | instskip(SKIP_1) | instid1(VALU_DEP_3)
	v_add_f64 v[110:111], v[110:111], v[120:121]
	v_mul_f64 v[120:121], v[140:141], s[26:27]
	v_add_f64 v[96:97], v[100:101], v[96:97]
	v_fma_f64 v[100:101], v[156:157], s[34:35], v[192:193]
	s_delay_alu instid0(VALU_DEP_3) | instskip(SKIP_1) | instid1(VALU_DEP_3)
	v_fma_f64 v[112:113], v[82:83], s[12:13], v[120:121]
	v_fma_f64 v[120:121], v[82:83], s[12:13], -v[120:121]
	v_add_f64 v[98:99], v[100:101], v[98:99]
	v_fma_f64 v[100:101], v[162:163], s[14:15], v[194:195]
	s_delay_alu instid0(VALU_DEP_1) | instskip(SKIP_1) | instid1(VALU_DEP_1)
	v_add_f64 v[96:97], v[100:101], v[96:97]
	v_fma_f64 v[100:101], v[168:169], s[40:41], v[196:197]
	v_add_f64 v[98:99], v[100:101], v[98:99]
	v_fma_f64 v[100:101], v[174:175], s[16:17], v[198:199]
	s_delay_alu instid0(VALU_DEP_1) | instskip(SKIP_1) | instid1(VALU_DEP_1)
	v_add_f64 v[96:97], v[100:101], v[96:97]
	v_fma_f64 v[100:101], v[180:181], s[42:43], v[200:201]
	v_add_f64 v[98:99], v[100:101], v[98:99]
	v_fma_f64 v[100:101], v[68:69], s[0:1], v[202:203]
	s_delay_alu instid0(VALU_DEP_1) | instskip(SKIP_1) | instid1(VALU_DEP_2)
	v_add_f64 v[100:101], v[100:101], v[108:109]
	v_fma_f64 v[108:109], v[82:83], s[16:17], v[226:227]
	v_add_f64 v[100:101], v[104:105], v[100:101]
	v_fma_f64 v[104:105], v[144:145], s[20:21], v[208:209]
	s_delay_alu instid0(VALU_DEP_1) | instskip(SKIP_1) | instid1(VALU_DEP_1)
	v_add_f64 v[102:103], v[104:105], v[102:103]
	v_fma_f64 v[104:105], v[150:151], s[16:17], v[210:211]
	v_add_f64 v[100:101], v[104:105], v[100:101]
	v_fma_f64 v[104:105], v[156:157], s[42:43], v[212:213]
	s_delay_alu instid0(VALU_DEP_1) | instskip(SKIP_1) | instid1(VALU_DEP_1)
	;; [unrolled: 5-line block ×4, first 2 shown]
	v_add_f64 v[102:103], v[104:105], v[102:103]
	v_fma_f64 v[104:105], v[68:69], s[6:7], v[222:223]
	v_add_f64 v[104:105], v[104:105], v[114:115]
	s_delay_alu instid0(VALU_DEP_1) | instskip(SKIP_1) | instid1(VALU_DEP_1)
	v_add_f64 v[104:105], v[108:109], v[104:105]
	v_fma_f64 v[108:109], v[144:145], s[42:43], v[228:229]
	v_add_f64 v[106:107], v[108:109], v[106:107]
	v_fma_f64 v[108:109], v[150:151], s[14:15], v[230:231]
	s_delay_alu instid0(VALU_DEP_1) | instskip(SKIP_1) | instid1(VALU_DEP_1)
	v_add_f64 v[104:105], v[108:109], v[104:105]
	v_fma_f64 v[108:109], v[156:157], s[30:31], v[232:233]
	v_add_f64 v[106:107], v[108:109], v[106:107]
	v_fma_f64 v[108:109], v[162:163], s[0:1], v[234:235]
	;; [unrolled: 5-line block ×4, first 2 shown]
	s_delay_alu instid0(VALU_DEP_1) | instskip(SKIP_1) | instid1(VALU_DEP_2)
	v_add_f64 v[108:109], v[108:109], v[118:119]
	v_mul_f64 v[118:119], v[138:139], s[16:17]
	v_add_f64 v[108:109], v[112:113], v[108:109]
	v_fma_f64 v[112:113], v[144:145], s[36:37], v[246:247]
	s_delay_alu instid0(VALU_DEP_3) | instskip(SKIP_1) | instid1(VALU_DEP_3)
	v_fma_f64 v[114:115], v[72:73], s[42:43], v[118:119]
	v_fma_f64 v[118:119], v[72:73], s[38:39], v[118:119]
	v_add_f64 v[110:111], v[112:113], v[110:111]
	v_fma_f64 v[112:113], v[150:151], s[0:1], v[248:249]
	s_delay_alu instid0(VALU_DEP_4) | instskip(SKIP_2) | instid1(VALU_DEP_4)
	v_add_f64 v[114:115], v[114:115], v[124:125]
	v_mul_f64 v[124:125], v[140:141], s[34:35]
	v_add_f64 v[118:119], v[118:119], v[134:135]
	v_add_f64 v[108:109], v[112:113], v[108:109]
	v_fma_f64 v[112:113], v[156:157], s[22:23], v[250:251]
	s_delay_alu instid0(VALU_DEP_1) | instskip(SKIP_1) | instid1(VALU_DEP_1)
	v_add_f64 v[110:111], v[112:113], v[110:111]
	v_fma_f64 v[112:113], v[162:163], s[16:17], v[252:253]
	v_add_f64 v[108:109], v[112:113], v[108:109]
	v_fma_f64 v[112:113], v[168:169], s[42:43], v[254:255]
	s_delay_alu instid0(VALU_DEP_2) | instskip(SKIP_1) | instid1(VALU_DEP_3)
	v_add_f64 v[108:109], v[2:3], v[108:109]
	v_mul_f64 v[2:3], v[178:179], s[8:9]
	v_add_f64 v[110:111], v[112:113], v[110:111]
	s_delay_alu instid0(VALU_DEP_2) | instskip(SKIP_1) | instid1(VALU_DEP_2)
	v_fma_f64 v[112:113], v[180:181], s[28:29], v[2:3]
	v_fma_f64 v[2:3], v[180:181], s[20:21], v[2:3]
	v_add_f64 v[110:111], v[112:113], v[110:111]
	v_fma_f64 v[112:113], v[68:69], s[16:17], v[116:117]
	v_fma_f64 v[116:117], v[68:69], s[16:17], -v[116:117]
	s_delay_alu instid0(VALU_DEP_2) | instskip(SKIP_1) | instid1(VALU_DEP_3)
	v_add_f64 v[112:113], v[112:113], v[130:131]
	v_fma_f64 v[130:131], v[82:83], s[6:7], v[124:125]
	v_add_f64 v[116:117], v[116:117], v[132:133]
	v_fma_f64 v[124:125], v[82:83], s[6:7], -v[124:125]
	s_delay_alu instid0(VALU_DEP_3) | instskip(SKIP_1) | instid1(VALU_DEP_3)
	v_add_f64 v[112:113], v[130:131], v[112:113]
	v_mul_f64 v[130:131], v[142:143], s[6:7]
	v_add_f64 v[116:117], v[124:125], v[116:117]
	s_delay_alu instid0(VALU_DEP_2) | instskip(SKIP_1) | instid1(VALU_DEP_2)
	v_fma_f64 v[136:137], v[144:145], s[24:25], v[130:131]
	v_fma_f64 v[124:125], v[144:145], s[34:35], v[130:131]
	v_add_f64 v[114:115], v[136:137], v[114:115]
	v_mul_f64 v[136:137], v[148:149], s[36:37]
	s_delay_alu instid0(VALU_DEP_3) | instskip(NEXT) | instid1(VALU_DEP_2)
	v_add_f64 v[118:119], v[124:125], v[118:119]
	v_fma_f64 v[138:139], v[150:151], s[12:13], v[136:137]
	v_fma_f64 v[124:125], v[150:151], s[12:13], -v[136:137]
	s_delay_alu instid0(VALU_DEP_2) | instskip(SKIP_1) | instid1(VALU_DEP_3)
	v_add_f64 v[112:113], v[138:139], v[112:113]
	v_mul_f64 v[138:139], v[154:155], s[12:13]
	v_add_f64 v[116:117], v[124:125], v[116:117]
	v_mul_f64 v[154:155], v[178:179], s[14:15]
	s_delay_alu instid0(VALU_DEP_3) | instskip(SKIP_1) | instid1(VALU_DEP_3)
	v_fma_f64 v[140:141], v[156:157], s[26:27], v[138:139]
	v_fma_f64 v[124:125], v[156:157], s[36:37], v[138:139]
	;; [unrolled: 1-line block ×3, first 2 shown]
	s_delay_alu instid0(VALU_DEP_3) | instskip(SKIP_1) | instid1(VALU_DEP_4)
	v_add_f64 v[114:115], v[140:141], v[114:115]
	v_mul_f64 v[140:141], v[160:161], s[20:21]
	v_add_f64 v[118:119], v[124:125], v[118:119]
	s_delay_alu instid0(VALU_DEP_2) | instskip(SKIP_1) | instid1(VALU_DEP_2)
	v_fma_f64 v[142:143], v[162:163], s[8:9], v[140:141]
	v_fma_f64 v[124:125], v[162:163], s[8:9], -v[140:141]
	v_add_f64 v[112:113], v[142:143], v[112:113]
	v_mul_f64 v[142:143], v[166:167], s[8:9]
	s_delay_alu instid0(VALU_DEP_3) | instskip(NEXT) | instid1(VALU_DEP_2)
	v_add_f64 v[116:117], v[124:125], v[116:117]
	v_fma_f64 v[148:149], v[168:169], s[28:29], v[142:143]
	v_fma_f64 v[124:125], v[168:169], s[20:21], v[142:143]
	s_delay_alu instid0(VALU_DEP_2) | instskip(SKIP_1) | instid1(VALU_DEP_3)
	v_add_f64 v[114:115], v[148:149], v[114:115]
	v_mul_f64 v[148:149], v[172:173], s[30:31]
	v_add_f64 v[118:119], v[124:125], v[118:119]
	s_delay_alu instid0(VALU_DEP_2) | instskip(SKIP_1) | instid1(VALU_DEP_3)
	v_fma_f64 v[124:125], v[174:175], s[14:15], -v[148:149]
	v_fma_f64 v[160:161], v[174:175], s[14:15], v[148:149]
	v_add_f64 v[118:119], v[130:131], v[118:119]
	s_delay_alu instid0(VALU_DEP_3) | instskip(SKIP_1) | instid1(VALU_DEP_4)
	v_add_f64 v[116:117], v[124:125], v[116:117]
	v_fma_f64 v[124:125], v[68:69], s[14:15], -v[242:243]
	v_add_f64 v[112:113], v[160:161], v[112:113]
	v_fma_f64 v[160:161], v[180:181], s[40:41], v[154:155]
	s_delay_alu instid0(VALU_DEP_3) | instskip(SKIP_1) | instid1(VALU_DEP_3)
	v_add_f64 v[122:123], v[124:125], v[122:123]
	v_fma_f64 v[124:125], v[72:73], s[30:31], v[244:245]
	v_add_f64 v[114:115], v[160:161], v[114:115]
	s_delay_alu instid0(VALU_DEP_3) | instskip(NEXT) | instid1(VALU_DEP_3)
	v_add_f64 v[120:121], v[120:121], v[122:123]
	v_add_f64 v[124:125], v[124:125], v[128:129]
	v_fma_f64 v[122:123], v[144:145], s[26:27], v[246:247]
	s_delay_alu instid0(VALU_DEP_1) | instskip(SKIP_1) | instid1(VALU_DEP_1)
	v_add_f64 v[122:123], v[122:123], v[124:125]
	v_fma_f64 v[124:125], v[150:151], s[0:1], -v[248:249]
	v_add_f64 v[120:121], v[124:125], v[120:121]
	v_fma_f64 v[124:125], v[156:157], s[18:19], v[250:251]
	s_delay_alu instid0(VALU_DEP_1) | instskip(SKIP_1) | instid1(VALU_DEP_1)
	v_add_f64 v[122:123], v[124:125], v[122:123]
	v_fma_f64 v[124:125], v[162:163], s[16:17], -v[252:253]
	v_add_f64 v[120:121], v[124:125], v[120:121]
	v_fma_f64 v[124:125], v[168:169], s[38:39], v[254:255]
	s_delay_alu instid0(VALU_DEP_2) | instskip(NEXT) | instid1(VALU_DEP_2)
	v_add_f64 v[120:121], v[0:1], v[120:121]
	v_add_f64 v[122:123], v[124:125], v[122:123]
	v_fma_f64 v[0:1], v[68:69], s[6:7], -v[222:223]
	s_delay_alu instid0(VALU_DEP_2) | instskip(SKIP_1) | instid1(VALU_DEP_3)
	v_add_f64 v[122:123], v[2:3], v[122:123]
	v_fma_f64 v[2:3], v[72:73], s[24:25], v[224:225]
	v_add_f64 v[0:1], v[0:1], v[92:93]
	v_fma_f64 v[92:93], v[180:181], s[36:37], v[240:241]
	s_delay_alu instid0(VALU_DEP_3) | instskip(SKIP_1) | instid1(VALU_DEP_1)
	v_add_f64 v[2:3], v[2:3], v[90:91]
	v_fma_f64 v[90:91], v[82:83], s[16:17], -v[226:227]
	v_add_f64 v[0:1], v[90:91], v[0:1]
	v_fma_f64 v[90:91], v[144:145], s[38:39], v[228:229]
	s_delay_alu instid0(VALU_DEP_1) | instskip(SKIP_1) | instid1(VALU_DEP_1)
	v_add_f64 v[2:3], v[90:91], v[2:3]
	v_fma_f64 v[90:91], v[150:151], s[14:15], -v[230:231]
	v_add_f64 v[0:1], v[90:91], v[0:1]
	v_fma_f64 v[90:91], v[156:157], s[40:41], v[232:233]
	s_delay_alu instid0(VALU_DEP_1) | instskip(SKIP_1) | instid1(VALU_DEP_1)
	v_add_f64 v[2:3], v[90:91], v[2:3]
	v_fma_f64 v[90:91], v[162:163], s[0:1], -v[234:235]
	v_add_f64 v[0:1], v[90:91], v[0:1]
	v_fma_f64 v[90:91], v[168:169], s[18:19], v[236:237]
	s_delay_alu instid0(VALU_DEP_1) | instskip(SKIP_1) | instid1(VALU_DEP_2)
	v_add_f64 v[2:3], v[90:91], v[2:3]
	v_fma_f64 v[90:91], v[174:175], s[12:13], -v[238:239]
	v_add_f64 v[92:93], v[92:93], v[2:3]
	s_delay_alu instid0(VALU_DEP_2) | instskip(SKIP_2) | instid1(VALU_DEP_2)
	v_add_f64 v[90:91], v[90:91], v[0:1]
	v_fma_f64 v[0:1], v[68:69], s[0:1], -v[202:203]
	v_fma_f64 v[2:3], v[72:73], s[22:23], v[204:205]
	v_add_f64 v[0:1], v[0:1], v[88:89]
	s_delay_alu instid0(VALU_DEP_2) | instskip(SKIP_2) | instid1(VALU_DEP_2)
	v_add_f64 v[2:3], v[2:3], v[86:87]
	v_fma_f64 v[86:87], v[82:83], s[8:9], -v[206:207]
	v_fma_f64 v[88:89], v[180:181], s[34:35], v[220:221]
	v_add_f64 v[0:1], v[86:87], v[0:1]
	v_fma_f64 v[86:87], v[144:145], s[28:29], v[208:209]
	s_delay_alu instid0(VALU_DEP_1) | instskip(SKIP_1) | instid1(VALU_DEP_1)
	v_add_f64 v[2:3], v[86:87], v[2:3]
	v_fma_f64 v[86:87], v[150:151], s[16:17], -v[210:211]
	v_add_f64 v[0:1], v[86:87], v[0:1]
	v_fma_f64 v[86:87], v[156:157], s[38:39], v[212:213]
	s_delay_alu instid0(VALU_DEP_1) | instskip(SKIP_1) | instid1(VALU_DEP_1)
	v_add_f64 v[2:3], v[86:87], v[2:3]
	v_fma_f64 v[86:87], v[162:163], s[12:13], -v[214:215]
	v_add_f64 v[0:1], v[86:87], v[0:1]
	v_fma_f64 v[86:87], v[168:169], s[26:27], v[216:217]
	s_delay_alu instid0(VALU_DEP_1) | instskip(SKIP_1) | instid1(VALU_DEP_2)
	v_add_f64 v[2:3], v[86:87], v[2:3]
	v_fma_f64 v[86:87], v[174:175], s[6:7], -v[218:219]
	v_add_f64 v[88:89], v[88:89], v[2:3]
	s_delay_alu instid0(VALU_DEP_2) | instskip(SKIP_2) | instid1(VALU_DEP_2)
	v_add_f64 v[86:87], v[86:87], v[0:1]
	v_fma_f64 v[0:1], v[68:69], s[8:9], -v[184:185]
	v_fma_f64 v[2:3], v[72:73], s[20:21], v[126:127]
	v_add_f64 v[0:1], v[0:1], v[66:67]
	s_delay_alu instid0(VALU_DEP_2) | instskip(SKIP_2) | instid1(VALU_DEP_2)
	v_add_f64 v[2:3], v[2:3], v[64:65]
	v_fma_f64 v[64:65], v[82:83], s[0:1], -v[186:187]
	v_fma_f64 v[66:67], v[180:181], s[38:39], v[200:201]
	v_add_f64 v[0:1], v[64:65], v[0:1]
	v_fma_f64 v[64:65], v[144:145], s[22:23], v[188:189]
	s_delay_alu instid0(VALU_DEP_1) | instskip(SKIP_1) | instid1(VALU_DEP_1)
	v_add_f64 v[2:3], v[64:65], v[2:3]
	v_fma_f64 v[64:65], v[150:151], s[6:7], -v[190:191]
	v_add_f64 v[0:1], v[64:65], v[0:1]
	v_fma_f64 v[64:65], v[156:157], s[24:25], v[192:193]
	s_delay_alu instid0(VALU_DEP_1) | instskip(SKIP_1) | instid1(VALU_DEP_1)
	v_add_f64 v[2:3], v[64:65], v[2:3]
	v_fma_f64 v[64:65], v[162:163], s[14:15], -v[194:195]
	v_add_f64 v[0:1], v[64:65], v[0:1]
	v_fma_f64 v[64:65], v[168:169], s[30:31], v[196:197]
	s_delay_alu instid0(VALU_DEP_1) | instskip(SKIP_1) | instid1(VALU_DEP_2)
	v_add_f64 v[2:3], v[64:65], v[2:3]
	v_fma_f64 v[64:65], v[174:175], s[16:17], -v[198:199]
	v_add_f64 v[66:67], v[66:67], v[2:3]
	s_delay_alu instid0(VALU_DEP_2) | instskip(SKIP_4) | instid1(VALU_DEP_4)
	v_add_f64 v[64:65], v[64:65], v[0:1]
	v_fma_f64 v[0:1], v[68:69], s[12:13], v[70:71]
	v_fma_f64 v[2:3], v[72:73], s[36:37], v[74:75]
	;; [unrolled: 1-line block ×4, first 2 shown]
	v_add_f64 v[0:1], v[0:1], v[60:61]
	s_delay_alu instid0(VALU_DEP_4) | instskip(SKIP_2) | instid1(VALU_DEP_4)
	v_add_f64 v[2:3], v[2:3], v[62:63]
	v_fma_f64 v[60:61], v[150:151], s[8:9], v[152:153]
	v_fma_f64 v[62:63], v[156:157], s[28:29], v[158:159]
	v_add_f64 v[0:1], v[68:69], v[0:1]
	s_delay_alu instid0(VALU_DEP_4) | instskip(SKIP_2) | instid1(VALU_DEP_4)
	v_add_f64 v[2:3], v[70:71], v[2:3]
	v_fma_f64 v[68:69], v[162:163], s[6:7], v[164:165]
	v_fma_f64 v[70:71], v[168:169], s[24:25], v[170:171]
	v_add_f64 v[0:1], v[60:61], v[0:1]
	s_delay_alu instid0(VALU_DEP_4)
	v_add_f64 v[2:3], v[62:63], v[2:3]
	v_fma_f64 v[60:61], v[174:175], s[0:1], v[176:177]
	v_fma_f64 v[62:63], v[180:181], s[18:19], v[182:183]
	v_cmp_gt_u32_e64 s0, 17, v78
	v_add_f64 v[0:1], v[68:69], v[0:1]
	v_add_f64 v[2:3], v[70:71], v[2:3]
	s_delay_alu instid0(VALU_DEP_2) | instskip(NEXT) | instid1(VALU_DEP_2)
	v_add_f64 v[60:61], v[60:61], v[0:1]
	v_add_f64 v[62:63], v[62:63], v[2:3]
	;; [unrolled: 1-line block ×4, first 2 shown]
	s_delay_alu instid0(VALU_DEP_2) | instskip(NEXT) | instid1(VALU_DEP_2)
	v_add_f64 v[0:1], v[0:1], v[28:29]
	v_add_f64 v[2:3], v[2:3], v[30:31]
	s_delay_alu instid0(VALU_DEP_2) | instskip(NEXT) | instid1(VALU_DEP_2)
	v_add_f64 v[0:1], v[0:1], v[36:37]
	v_add_f64 v[2:3], v[2:3], v[38:39]
	;; [unrolled: 3-line block ×10, first 2 shown]
	v_and_b32_e32 v0, 0xffff, v79
	v_lshlrev_b32_e32 v1, 4, v94
	s_delay_alu instid0(VALU_DEP_2) | instskip(NEXT) | instid1(VALU_DEP_1)
	v_mul_u32_u24_e32 v0, 0xdd0, v0
	v_add3_u32 v0, 0, v0, v1
	ds_store_b128 v0, v[96:99] offset:544
	ds_store_b128 v0, v[100:103] offset:816
	;; [unrolled: 1-line block ×12, first 2 shown]
	ds_store_b128 v0, v[14:17]
	s_waitcnt lgkmcnt(0)
	s_barrier
	buffer_gl0_inv
	ds_load_b128 v[20:23], v95
	ds_load_b128 v[12:15], v95 offset:816
	ds_load_b128 v[44:47], v95 offset:3536
	;; [unrolled: 1-line block ×11, first 2 shown]
	s_and_saveexec_b32 s1, s0
	s_cbranch_execz .LBB0_15
; %bb.14:
	ds_load_b128 v[8:11], v95 offset:3264
	ds_load_b128 v[0:3], v95 offset:6800
	ds_load_b128 v[4:7], v95 offset:10336
	s_waitcnt lgkmcnt(1)
	scratch_store_b128 off, v[0:3], off     ; 16-byte Folded Spill
.LBB0_15:
	s_or_b32 exec_lo, exec_lo, s1
	s_and_saveexec_b32 s1, vcc_lo
	s_cbranch_execz .LBB0_18
; %bb.16:
	v_dual_mov_b32 v61, 0 :: v_dual_add_nc_u32 v112, 0x99, v78
	v_add_nc_u32_e32 v113, 0x66, v78
	v_lshlrev_b32_e32 v0, 1, v78
	v_mul_lo_u32 v81, s2, v81
	s_delay_alu instid0(VALU_DEP_4) | instskip(SKIP_2) | instid1(VALU_DEP_2)
	v_dual_mov_b32 v1, v61 :: v_dual_lshlrev_b32 v60, 1, v112
	v_mov_b32_e32 v79, v61
	s_mov_b32 s7, 0x3febb67a
	v_lshlrev_b64 v[2:3], 4, v[60:61]
	v_lshlrev_b32_e32 v60, 1, v113
	v_lshlrev_b64 v[62:63], 4, v[0:1]
	s_delay_alu instid0(VALU_DEP_2) | instskip(SKIP_4) | instid1(VALU_DEP_4)
	v_lshlrev_b64 v[70:71], 4, v[60:61]
	v_add_nc_u32_e32 v60, 0x66, v0
	v_add_co_u32 v0, vcc_lo, s4, v2
	v_add_co_ci_u32_e32 v1, vcc_lo, s5, v3, vcc_lo
	v_add_co_u32 v2, vcc_lo, s4, v62
	v_lshlrev_b64 v[74:75], 4, v[60:61]
	v_add_co_ci_u32_e32 v3, vcc_lo, s5, v63, vcc_lo
	s_clause 0x1
	global_load_b128 v[62:65], v[0:1], off offset:3280
	global_load_b128 v[66:69], v[0:1], off offset:3264
	v_add_co_u32 v0, vcc_lo, s4, v70
	v_add_co_ci_u32_e32 v1, vcc_lo, s5, v71, vcc_lo
	s_clause 0x1
	global_load_b128 v[70:73], v[2:3], off offset:3280
	global_load_b128 v[82:85], v[2:3], off offset:3264
	v_add_co_u32 v2, vcc_lo, s4, v74
	v_add_co_ci_u32_e32 v3, vcc_lo, s5, v75, vcc_lo
	s_clause 0x3
	global_load_b128 v[86:89], v[0:1], off offset:3264
	global_load_b128 v[90:93], v[0:1], off offset:3280
	;; [unrolled: 1-line block ×4, first 2 shown]
	v_mul_lo_u32 v60, s3, v80
	s_waitcnt vmcnt(7) lgkmcnt(0)
	v_mul_f64 v[2:3], v[40:41], v[64:65]
	s_waitcnt vmcnt(6)
	v_mul_f64 v[0:1], v[36:37], v[68:69]
	v_mul_f64 v[68:69], v[38:39], v[68:69]
	v_mul_f64 v[64:65], v[42:43], v[64:65]
	s_waitcnt vmcnt(5)
	v_mul_f64 v[102:103], v[48:49], v[72:73]
	s_waitcnt vmcnt(4)
	v_mul_f64 v[74:75], v[44:45], v[84:85]
	v_mul_f64 v[84:85], v[46:47], v[84:85]
	v_mul_f64 v[72:73], v[50:51], v[72:73]
	s_waitcnt vmcnt(3)
	;; [unrolled: 6-line block ×3, first 2 shown]
	v_mul_f64 v[108:109], v[28:29], v[96:97]
	s_waitcnt vmcnt(0)
	v_mul_f64 v[110:111], v[32:33], v[100:101]
	v_mul_f64 v[96:97], v[30:31], v[96:97]
	;; [unrolled: 1-line block ×3, first 2 shown]
	v_fma_f64 v[2:3], v[42:43], v[62:63], -v[2:3]
	v_fma_f64 v[0:1], v[38:39], v[66:67], -v[0:1]
	v_fma_f64 v[36:37], v[36:37], v[66:67], v[68:69]
	v_fma_f64 v[40:41], v[40:41], v[62:63], v[64:65]
	v_fma_f64 v[42:43], v[50:51], v[70:71], -v[102:103]
	v_fma_f64 v[38:39], v[46:47], v[82:83], -v[74:75]
	v_fma_f64 v[44:45], v[44:45], v[82:83], v[84:85]
	v_fma_f64 v[46:47], v[48:49], v[70:71], v[72:73]
	;; [unrolled: 4-line block ×4, first 2 shown]
	v_lshlrev_b64 v[74:75], 4, v[76:77]
	v_mad_u64_u32 v[56:57], null, s2, v80, 0
	v_mul_hi_u32 v102, 0x288b0129, v112
	v_mul_hi_u32 v101, 0x288b0129, v113
	s_mov_b32 s2, 0xe8584caa
	s_mov_b32 s3, 0xbfebb67a
	;; [unrolled: 1-line block ×3, first 2 shown]
	v_lshlrev_b64 v[79:80], 4, v[78:79]
	s_delay_alu instid0(VALU_DEP_4) | instskip(NEXT) | instid1(VALU_DEP_4)
	v_add3_u32 v57, v57, v81, v60
	v_sub_nc_u32_e32 v81, v112, v102
	s_delay_alu instid0(VALU_DEP_4) | instskip(NEXT) | instid1(VALU_DEP_3)
	v_sub_nc_u32_e32 v60, v113, v101
	v_lshlrev_b64 v[56:57], 4, v[56:57]
	s_delay_alu instid0(VALU_DEP_3) | instskip(NEXT) | instid1(VALU_DEP_3)
	v_lshrrev_b32_e32 v103, 1, v81
	v_lshrrev_b32_e32 v60, 1, v60
	v_add_f64 v[58:59], v[0:1], v[2:3]
	v_add_f64 v[83:84], v[18:19], v[0:1]
	;; [unrolled: 1-line block ×3, first 2 shown]
	v_add_f64 v[81:82], v[36:37], -v[40:41]
	v_add_f64 v[36:37], v[16:17], v[36:37]
	v_add_f64 v[62:63], v[38:39], v[42:43]
	;; [unrolled: 1-line block ×4, first 2 shown]
	v_add_f64 v[89:90], v[38:39], -v[42:43]
	v_add_f64 v[66:67], v[48:49], v[50:51]
	v_add_f64 v[38:39], v[20:21], v[44:45]
	;; [unrolled: 1-line block ×3, first 2 shown]
	v_add_f64 v[85:86], v[44:45], -v[46:47]
	v_add_f64 v[70:71], v[30:31], v[34:35]
	v_add_f64 v[91:92], v[52:53], -v[54:55]
	v_add_f64 v[72:73], v[28:29], v[32:33]
	v_add_f64 v[44:45], v[26:27], v[48:49]
	v_add_f64 v[93:94], v[48:49], -v[50:51]
	v_add_f64 v[48:49], v[24:25], v[52:53]
	v_add_f64 v[52:53], v[28:29], -v[32:33]
	v_add_f64 v[95:96], v[14:15], v[30:31]
	v_add_f64 v[28:29], v[12:13], v[28:29]
	v_add_f64 v[97:98], v[30:31], -v[34:35]
	v_add_f64 v[0:1], v[0:1], -v[2:3]
	v_fma_f64 v[99:100], v[58:59], -0.5, v[18:19]
	v_add_f64 v[18:19], v[83:84], v[2:3]
	v_fma_f64 v[58:59], v[62:63], -0.5, v[22:23]
	v_add_f64 v[22:23], v[87:88], v[42:43]
	v_fma_f64 v[62:63], v[64:65], -0.5, v[20:21]
	v_fma_f64 v[64:65], v[66:67], -0.5, v[26:27]
	v_add_f64 v[20:21], v[38:39], v[46:47]
	v_fma_f64 v[66:67], v[68:69], -0.5, v[24:25]
	v_fma_f64 v[68:69], v[70:71], -0.5, v[14:15]
	v_add_nc_u32_e32 v14, v60, v101
	v_fma_f64 v[70:71], v[72:73], -0.5, v[12:13]
	v_fma_f64 v[72:73], v[76:77], -0.5, v[16:17]
	v_add_co_u32 v12, vcc_lo, s10, v56
	v_add_f64 v[26:27], v[44:45], v[50:51]
	v_add_f64 v[30:31], v[95:96], v[34:35]
	;; [unrolled: 1-line block ×3, first 2 shown]
	v_add_co_ci_u32_e32 v13, vcc_lo, s11, v57, vcc_lo
	v_lshrrev_b32_e32 v14, 7, v14
	v_add_f64 v[16:17], v[36:37], v[40:41]
	v_add_f64 v[24:25], v[48:49], v[54:55]
	v_add_nc_u32_e32 v15, v103, v102
	v_add_co_u32 v12, vcc_lo, v12, v74
	v_add_co_ci_u32_e32 v13, vcc_lo, v13, v75, vcc_lo
	v_mul_u32_u24_e32 v60, 0x1ba, v14
	s_delay_alu instid0(VALU_DEP_4) | instskip(NEXT) | instid1(VALU_DEP_4)
	v_lshrrev_b32_e32 v76, 7, v15
	v_add_co_u32 v12, vcc_lo, v12, v79
	s_delay_alu instid0(VALU_DEP_4) | instskip(SKIP_2) | instid1(VALU_DEP_4)
	v_add_co_ci_u32_e32 v13, vcc_lo, v13, v80, vcc_lo
	v_fma_f64 v[34:35], v[81:82], s[2:3], v[99:100]
	v_lshlrev_b64 v[74:75], 4, v[60:61]
	v_add_co_u32 v14, vcc_lo, 0x1000, v12
	v_mul_u32_u24_e32 v60, 0x1ba, v76
	v_fma_f64 v[42:43], v[85:86], s[6:7], v[58:59]
	v_fma_f64 v[38:39], v[85:86], s[2:3], v[58:59]
	;; [unrolled: 1-line block ×15, first 2 shown]
	v_add_co_ci_u32_e32 v15, vcc_lo, 0, v13, vcc_lo
	v_add_co_u32 v0, vcc_lo, v12, v74
	v_add_co_ci_u32_e32 v1, vcc_lo, v13, v75, vcc_lo
	v_lshlrev_b64 v[2:3], 4, v[60:61]
	s_delay_alu instid0(VALU_DEP_3) | instskip(NEXT) | instid1(VALU_DEP_3)
	v_add_co_u32 v66, vcc_lo, 0x660, v0
	v_add_co_ci_u32_e32 v67, vcc_lo, 0, v1, vcc_lo
	s_delay_alu instid0(VALU_DEP_3) | instskip(NEXT) | instid1(VALU_DEP_4)
	v_add_co_u32 v2, vcc_lo, v12, v2
	v_add_co_ci_u32_e32 v3, vcc_lo, v13, v3, vcc_lo
	v_add_co_u32 v68, vcc_lo, 0x2000, v0
	v_add_co_ci_u32_e32 v69, vcc_lo, 0, v1, vcc_lo
	s_delay_alu instid0(VALU_DEP_4) | instskip(NEXT) | instid1(VALU_DEP_4)
	v_add_co_u32 v70, vcc_lo, 0x990, v2
	v_add_co_ci_u32_e32 v71, vcc_lo, 0, v3, vcc_lo
	v_add_co_u32 v72, vcc_lo, 0x2000, v2
	v_add_co_ci_u32_e32 v73, vcc_lo, 0, v3, vcc_lo
	s_clause 0xb
	global_store_b128 v[12:13], v[20:23], off
	global_store_b128 v[12:13], v[28:31], off offset:816
	global_store_b128 v[68:69], v[44:47], off offset:512
	global_store_b128 v[12:13], v[40:43], off offset:3536
	global_store_b128 v[14:15], v[48:51], off offset:256
	global_store_b128 v[14:15], v[36:39], off offset:2976
	global_store_b128 v[14:15], v[52:55], off offset:3792
	global_store_b128 v[0:1], v[24:27], off offset:1632
	global_store_b128 v[66:67], v[56:59], off offset:3536
	global_store_b128 v[2:3], v[16:19], off offset:2448
	global_store_b128 v[70:71], v[62:65], off offset:3536
	global_store_b128 v[72:73], v[32:35], off offset:1328
	s_and_b32 exec_lo, exec_lo, s0
	s_cbranch_execz .LBB0_18
; %bb.17:
	v_mov_b32_e32 v0, 0xcc
	s_delay_alu instid0(VALU_DEP_1) | instskip(NEXT) | instid1(VALU_DEP_1)
	v_cndmask_b32_e64 v0, 0xffffffef, v0, s0
	v_add_lshl_u32 v60, v78, v0, 1
	s_delay_alu instid0(VALU_DEP_1) | instskip(NEXT) | instid1(VALU_DEP_1)
	v_lshlrev_b64 v[0:1], 4, v[60:61]
	v_add_co_u32 v0, vcc_lo, s4, v0
	s_delay_alu instid0(VALU_DEP_2)
	v_add_co_ci_u32_e32 v1, vcc_lo, s5, v1, vcc_lo
	s_clause 0x1
	global_load_b128 v[16:19], v[0:1], off offset:3264
	global_load_b128 v[20:23], v[0:1], off offset:3280
	scratch_load_b128 v[24:27], off, off    ; 16-byte Folded Reload
	s_waitcnt vmcnt(1)
	v_mul_f64 v[2:3], v[6:7], v[22:23]
	s_waitcnt vmcnt(0)
	v_mul_f64 v[0:1], v[26:27], v[18:19]
	v_mul_f64 v[18:19], v[24:25], v[18:19]
	;; [unrolled: 1-line block ×3, first 2 shown]
	s_delay_alu instid0(VALU_DEP_4) | instskip(NEXT) | instid1(VALU_DEP_4)
	v_fma_f64 v[2:3], v[4:5], v[20:21], v[2:3]
	v_fma_f64 v[0:1], v[24:25], v[16:17], v[0:1]
	s_delay_alu instid0(VALU_DEP_4) | instskip(NEXT) | instid1(VALU_DEP_4)
	v_fma_f64 v[4:5], v[26:27], v[16:17], -v[18:19]
	v_fma_f64 v[6:7], v[6:7], v[20:21], -v[22:23]
	s_delay_alu instid0(VALU_DEP_3) | instskip(SKIP_1) | instid1(VALU_DEP_3)
	v_add_f64 v[16:17], v[0:1], v[2:3]
	v_add_f64 v[20:21], v[8:9], v[0:1]
	;; [unrolled: 1-line block ×3, first 2 shown]
	v_add_f64 v[22:23], v[4:5], -v[6:7]
	v_add_f64 v[4:5], v[10:11], v[4:5]
	v_fma_f64 v[8:9], v[16:17], -0.5, v[8:9]
	v_add_f64 v[16:17], v[0:1], -v[2:3]
	v_fma_f64 v[10:11], v[18:19], -0.5, v[10:11]
	v_add_f64 v[0:1], v[20:21], v[2:3]
	v_add_f64 v[2:3], v[4:5], v[6:7]
	v_fma_f64 v[4:5], v[22:23], s[2:3], v[8:9]
	v_fma_f64 v[8:9], v[22:23], s[6:7], v[8:9]
	;; [unrolled: 1-line block ×4, first 2 shown]
	v_add_co_u32 v16, vcc_lo, 0x2000, v12
	v_add_co_ci_u32_e32 v17, vcc_lo, 0, v13, vcc_lo
	s_clause 0x2
	global_store_b128 v[12:13], v[0:3], off offset:3264
	global_store_b128 v[14:15], v[4:7], off offset:2704
	;; [unrolled: 1-line block ×3, first 2 shown]
.LBB0_18:
	s_endpgm
	.section	.rodata,"a",@progbits
	.p2align	6, 0x0
	.amdhsa_kernel fft_rtc_back_len663_factors_17_13_3_wgs_51_tpt_51_dp_op_CI_CI_unitstride_sbrr_dirReg
		.amdhsa_group_segment_fixed_size 0
		.amdhsa_private_segment_fixed_size 20
		.amdhsa_kernarg_size 104
		.amdhsa_user_sgpr_count 15
		.amdhsa_user_sgpr_dispatch_ptr 0
		.amdhsa_user_sgpr_queue_ptr 0
		.amdhsa_user_sgpr_kernarg_segment_ptr 1
		.amdhsa_user_sgpr_dispatch_id 0
		.amdhsa_user_sgpr_private_segment_size 0
		.amdhsa_wavefront_size32 1
		.amdhsa_uses_dynamic_stack 0
		.amdhsa_enable_private_segment 1
		.amdhsa_system_sgpr_workgroup_id_x 1
		.amdhsa_system_sgpr_workgroup_id_y 0
		.amdhsa_system_sgpr_workgroup_id_z 0
		.amdhsa_system_sgpr_workgroup_info 0
		.amdhsa_system_vgpr_workitem_id 0
		.amdhsa_next_free_vgpr 256
		.amdhsa_next_free_sgpr 56
		.amdhsa_reserve_vcc 1
		.amdhsa_float_round_mode_32 0
		.amdhsa_float_round_mode_16_64 0
		.amdhsa_float_denorm_mode_32 3
		.amdhsa_float_denorm_mode_16_64 3
		.amdhsa_dx10_clamp 1
		.amdhsa_ieee_mode 1
		.amdhsa_fp16_overflow 0
		.amdhsa_workgroup_processor_mode 1
		.amdhsa_memory_ordered 1
		.amdhsa_forward_progress 0
		.amdhsa_shared_vgpr_count 0
		.amdhsa_exception_fp_ieee_invalid_op 0
		.amdhsa_exception_fp_denorm_src 0
		.amdhsa_exception_fp_ieee_div_zero 0
		.amdhsa_exception_fp_ieee_overflow 0
		.amdhsa_exception_fp_ieee_underflow 0
		.amdhsa_exception_fp_ieee_inexact 0
		.amdhsa_exception_int_div_zero 0
	.end_amdhsa_kernel
	.text
.Lfunc_end0:
	.size	fft_rtc_back_len663_factors_17_13_3_wgs_51_tpt_51_dp_op_CI_CI_unitstride_sbrr_dirReg, .Lfunc_end0-fft_rtc_back_len663_factors_17_13_3_wgs_51_tpt_51_dp_op_CI_CI_unitstride_sbrr_dirReg
                                        ; -- End function
	.section	.AMDGPU.csdata,"",@progbits
; Kernel info:
; codeLenInByte = 15216
; NumSgprs: 58
; NumVgprs: 256
; ScratchSize: 20
; MemoryBound: 1
; FloatMode: 240
; IeeeMode: 1
; LDSByteSize: 0 bytes/workgroup (compile time only)
; SGPRBlocks: 7
; VGPRBlocks: 31
; NumSGPRsForWavesPerEU: 58
; NumVGPRsForWavesPerEU: 256
; Occupancy: 5
; WaveLimiterHint : 1
; COMPUTE_PGM_RSRC2:SCRATCH_EN: 1
; COMPUTE_PGM_RSRC2:USER_SGPR: 15
; COMPUTE_PGM_RSRC2:TRAP_HANDLER: 0
; COMPUTE_PGM_RSRC2:TGID_X_EN: 1
; COMPUTE_PGM_RSRC2:TGID_Y_EN: 0
; COMPUTE_PGM_RSRC2:TGID_Z_EN: 0
; COMPUTE_PGM_RSRC2:TIDIG_COMP_CNT: 0
	.text
	.p2alignl 7, 3214868480
	.fill 96, 4, 3214868480
	.type	__hip_cuid_f810afc0e20727af,@object ; @__hip_cuid_f810afc0e20727af
	.section	.bss,"aw",@nobits
	.globl	__hip_cuid_f810afc0e20727af
__hip_cuid_f810afc0e20727af:
	.byte	0                               ; 0x0
	.size	__hip_cuid_f810afc0e20727af, 1

	.ident	"AMD clang version 19.0.0git (https://github.com/RadeonOpenCompute/llvm-project roc-6.4.0 25133 c7fe45cf4b819c5991fe208aaa96edf142730f1d)"
	.section	".note.GNU-stack","",@progbits
	.addrsig
	.addrsig_sym __hip_cuid_f810afc0e20727af
	.amdgpu_metadata
---
amdhsa.kernels:
  - .args:
      - .actual_access:  read_only
        .address_space:  global
        .offset:         0
        .size:           8
        .value_kind:     global_buffer
      - .offset:         8
        .size:           8
        .value_kind:     by_value
      - .actual_access:  read_only
        .address_space:  global
        .offset:         16
        .size:           8
        .value_kind:     global_buffer
      - .actual_access:  read_only
        .address_space:  global
        .offset:         24
        .size:           8
        .value_kind:     global_buffer
      - .actual_access:  read_only
        .address_space:  global
        .offset:         32
        .size:           8
        .value_kind:     global_buffer
      - .offset:         40
        .size:           8
        .value_kind:     by_value
      - .actual_access:  read_only
        .address_space:  global
        .offset:         48
        .size:           8
        .value_kind:     global_buffer
      - .actual_access:  read_only
        .address_space:  global
        .offset:         56
        .size:           8
        .value_kind:     global_buffer
      - .offset:         64
        .size:           4
        .value_kind:     by_value
      - .actual_access:  read_only
        .address_space:  global
        .offset:         72
        .size:           8
        .value_kind:     global_buffer
      - .actual_access:  read_only
        .address_space:  global
        .offset:         80
        .size:           8
        .value_kind:     global_buffer
      - .actual_access:  read_only
        .address_space:  global
        .offset:         88
        .size:           8
        .value_kind:     global_buffer
      - .actual_access:  write_only
        .address_space:  global
        .offset:         96
        .size:           8
        .value_kind:     global_buffer
    .group_segment_fixed_size: 0
    .kernarg_segment_align: 8
    .kernarg_segment_size: 104
    .language:       OpenCL C
    .language_version:
      - 2
      - 0
    .max_flat_workgroup_size: 51
    .name:           fft_rtc_back_len663_factors_17_13_3_wgs_51_tpt_51_dp_op_CI_CI_unitstride_sbrr_dirReg
    .private_segment_fixed_size: 20
    .sgpr_count:     58
    .sgpr_spill_count: 0
    .symbol:         fft_rtc_back_len663_factors_17_13_3_wgs_51_tpt_51_dp_op_CI_CI_unitstride_sbrr_dirReg.kd
    .uniform_work_group_size: 1
    .uses_dynamic_stack: false
    .vgpr_count:     256
    .vgpr_spill_count: 8
    .wavefront_size: 32
    .workgroup_processor_mode: 1
amdhsa.target:   amdgcn-amd-amdhsa--gfx1100
amdhsa.version:
  - 1
  - 2
...

	.end_amdgpu_metadata
